;; amdgpu-corpus repo=ROCm/aiter kind=harvested arch=n/a opt=n/a

/root/src/amdgpu-assembly/repos/ROCm__aiter/hsa/gfx942/fmha_v3_fwd/MI300/fwd_hd128_bf16_rtne_group.co:	file format elf64-amdgpu

Disassembly of section .text:

0000000000003300 <_ZN5aiter30fmha_fwd_hd128_bf16_rtne_groupE>:
	s_and_b32 s1, s1, 0xffff                                   // 000000003300: 8601FF01 0000FFFF
	s_load_dwordx2 s[20:21], s[0:1], 0x0                       // 000000003308: C0060500 00000000
	s_load_dwordx2 s[8:9], s[0:1], 0x10                        // 000000003310: C0060200 00000010
	s_load_dwordx2 s[12:13], s[0:1], 0x20                      // 000000003318: C0060300 00000020
	s_load_dwordx2 s[16:17], s[0:1], 0x30                      // 000000003320: C0060400 00000030
	s_load_dwordx2 s[24:25], s[0:1], 0x40                      // 000000003328: C0060600 00000040
	s_load_dword s28, s[0:1], 0x50                             // 000000003330: C0020700 00000050
	s_load_dword s30, s[0:1], 0x60                             // 000000003338: C0020780 00000060
	s_load_dword s62, s[0:1], 0x70                             // 000000003340: C0020F80 00000070
	s_load_dword s31, s[0:1], 0x80                             // 000000003348: C00207C0 00000080
	s_load_dword s32, s[0:1], 0x90                             // 000000003350: C0020800 00000090
	s_load_dword s33, s[0:1], 0xa0                             // 000000003358: C0020840 000000A0
	s_load_dword s46, s[0:1], 0xb0                             // 000000003360: C0020B80 000000B0
	s_load_dword s61, s[0:1], 0xc0                             // 000000003368: C0020F40 000000C0
	s_load_dword s47, s[0:1], 0xd0                             // 000000003370: C0020BC0 000000D0
	s_load_dword s48, s[0:1], 0xe0                             // 000000003378: C0020C00 000000E0
	s_load_dword s34, s[0:1], 0xf0                             // 000000003380: C0020880 000000F0
	s_load_dword s37, s[0:1], 0x100                            // 000000003388: C0020940 00000100
	s_load_dword s7, s[0:1], 0x110                             // 000000003390: C00201C0 00000110
	s_load_dword s96, s[0:1], 0x140                            // 000000003398: C0021800 00000140
	s_load_dword s80, s[0:1], 0x150                            // 0000000033A0: C0021400 00000150
	s_load_dword s81, s[0:1], 0x160                            // 0000000033A8: C0021440 00000160
	s_load_dword s82, s[0:1], 0x170                            // 0000000033B0: C0021480 00000170
	s_load_dword s83, s[0:1], 0x180                            // 0000000033B8: C00214C0 00000180
	s_load_dword s84, s[0:1], 0x190                            // 0000000033C0: C0021500 00000190
	s_load_dword s85, s[0:1], 0x1a0                            // 0000000033C8: C0021540 000001A0
	s_load_dwordx2 s[76:77], s[0:1], 0x1b0                     // 0000000033D0: C0061300 000001B0
	s_load_dwordx2 s[78:79], s[0:1], 0x1c0                     // 0000000033D8: C0061380 000001C0
	s_load_dword s86, s[0:1], 0x1d0                            // 0000000033E0: C0021580 000001D0
	s_load_dwordx2 s[88:89], s[0:1], 0x1e0                     // 0000000033E8: C0061600 000001E0
	s_load_dwordx2 s[90:91], s[0:1], 0x1f0                     // 0000000033F0: C0061680 000001F0
	v_lshrrev_b32_e32 v1, 10, v0                               // 0000000033F8: 2002008A
	v_lshrrev_b32_e32 v2, 10, v1                               // 0000000033FC: 2004028A
	v_and_b32_e32 v2, 0x3ff, v2                                // 000000003400: 260404FF 000003FF
	v_and_b32_e32 v1, 0x3ff, v1                                // 000000003408: 260202FF 000003FF
	v_and_b32_e32 v0, 0x3ff, v0                                // 000000003410: 260000FF 000003FF
	v_lshrrev_b32_e32 v3, 6, v0                                // 000000003418: 20060086
	v_and_b32_e32 v0, 63, v0                                   // 00000000341C: 260000BF
	s_mov_b32 s2, s2                                           // 000000003420: BE820002
	s_mov_b32 s3, s3                                           // 000000003424: BE830003
	s_mov_b32 s4, s4                                           // 000000003428: BE840004
	v_readfirstlane_b32 s5, v3                                 // 00000000342C: 7E0A0503
	s_waitcnt lgkmcnt(0)                                       // 000000003430: BF8CC07F
	s_and_b32 s34, s34, 1                                      // 000000003434: 86228122
	s_nop 1                                                    // 000000003438: BF800001
	s_and_b32 s77, s77, 0xffff                                 // 00000000343C: 864DFF4D 0000FFFF
	s_and_b32 s79, s79, 0xffff                                 // 000000003444: 864FFF4F 0000FFFF
	s_and_b32 s89, s89, 0xffff                                 // 00000000344C: 8659FF59 0000FFFF
	s_and_b32 s91, s91, 0xffff                                 // 000000003454: 865BFF5B 0000FFFF
	s_mul_i32 s40, s3, 4                                       // 00000000345C: 92288403
	s_load_dword s92, s[88:89], s40                            // 000000003460: C000172C 00000028
	s_load_dword s93, s[90:91], s40                            // 000000003468: C000176D 00000028
	s_load_dword s41, s[76:77], s40                            // 000000003470: C0000A66 00000028
	s_load_dword s42, s[78:79], s40                            // 000000003478: C0000AA7 00000028
	s_add_u32 s40, s40, 4                                      // 000000003480: 80288428
	s_load_dword s94, s[76:77], s40                            // 000000003484: C00017A6 00000028
	s_load_dword s95, s[78:79], s40                            // 00000000348C: C00017E7 00000028
	s_waitcnt lgkmcnt(0)                                       // 000000003494: BF8CC07F
	s_sub_u32 s30, s94, s41                                    // 000000003498: 809E295E
	s_sub_u32 s7, s95, s42                                     // 00000000349C: 80872A5F
	s_add_i32 s40, s30, 0xff                                   // 0000000034A0: 8128FF1E 000000FF
	s_lshr_b32 s40, s40, 8                                     // 0000000034A8: 8F288828
	s_cmp_lt_i32 s4, s40                                       // 0000000034AC: BF042804
	s_cbranch_scc0 label_1230                                  // 0000000034B0: BF8411C3
	s_mul_i32 s40, s30, s62                                    // 0000000034B4: 92283E1E
	s_mov_b32 s10, s40                                         // 0000000034B8: BE8A0028
	s_mul_i32 s40, s30, s83                                    // 0000000034BC: 9228531E
	s_mov_b32 s22, s40                                         // 0000000034C0: BE960028
	s_mul_i32 s40, s7, s61                                     // 0000000034C4: 92283D07
	s_mov_b32 s14, s40                                         // 0000000034C8: BE8E0028
	s_mul_i32 s40, s7, s80                                     // 0000000034CC: 92285007
	s_mov_b32 s18, s40                                         // 0000000034D0: BE920028
	s_mul_i32 s40, s30, 4                                      // 0000000034D4: 9228841E
	s_mov_b32 s26, s40                                         // 0000000034D8: BE9A0028
	s_mov_b32 s23, 0x20000                                     // 0000000034DC: BE9700FF 00020000
	s_mov_b32 s11, 0x20000                                     // 0000000034E4: BE8B00FF 00020000
	s_mov_b32 s15, 0x20000                                     // 0000000034EC: BE8F00FF 00020000
	s_mov_b32 s19, 0x20000                                     // 0000000034F4: BE9300FF 00020000
	s_mov_b32 s27, 0x20000                                     // 0000000034FC: BE9B00FF 00020000
	s_and_b32 s21, s21, 0xffff                                 // 000000003504: 8615FF15 0000FFFF
	s_and_b32 s9, s9, 0xffff                                   // 00000000350C: 8609FF09 0000FFFF
	s_and_b32 s13, s13, 0xffff                                 // 000000003514: 860DFF0D 0000FFFF
	s_and_b32 s17, s17, 0xffff                                 // 00000000351C: 8611FF11 0000FFFF
	s_and_b32 s25, s25, 0xffff                                 // 000000003524: 8619FF19 0000FFFF
	s_nop 0                                                    // 00000000352C: BF800000
	s_nop 0                                                    // 000000003530: BF800000
	s_mov_b32 s64, s2                                          // 000000003534: BEC00002
	s_mov_b32 s65, s46                                         // 000000003538: BEC1002E
	v_cvt_f32_u32_e32 v16, s65                                 // 00000000353C: 7E200C41
	s_sub_i32 s40, 0, s65                                      // 000000003540: 81A84180
	v_rcp_iflag_f32_e32 v16, v16                               // 000000003544: 7E204710
	s_nop 0                                                    // 000000003548: BF800000
	v_mul_f32_e32 v16, 0x4f7ffffe, v16                         // 00000000354C: 0A2020FF 4F7FFFFE
	v_cvt_u32_f32_e32 v16, v16                                 // 000000003554: 7E200F10
	v_mul_lo_u32 v17, s40, v16                                 // 000000003558: D2850011 00022028
	v_mul_hi_u32 v17, v16, v17                                 // 000000003560: D2860011 00022310
	v_add_u32_e32 v16, v16, v17                                // 000000003568: 68202310
	v_mul_hi_u32 v16, s64, v16                                 // 00000000356C: D2860010 00022040
	v_mul_lo_u32 v17, v16, s65                                 // 000000003574: D2850011 00008310
	v_sub_u32_e32 v19, s64, v17                                // 00000000357C: 6A262240
	v_add_u32_e32 v18, 1, v16                                  // 000000003580: 68242081
	v_cmp_le_u32_e32 vcc, s65, v19                             // 000000003584: 7D962641
	v_subrev_u32_e32 v17, s65, v19                             // 000000003588: 6C222641
	s_nop 0                                                    // 00000000358C: BF800000
	v_cndmask_b32_e32 v16, v16, v18, vcc                       // 000000003590: 00202510
	v_cndmask_b32_e32 v19, v19, v17, vcc                       // 000000003594: 00262313
	v_add_u32_e32 v17, 1, v16                                  // 000000003598: 68222081
	v_cmp_le_u32_e32 vcc, s65, v19                             // 00000000359C: 7D962641
	s_nop 1                                                    // 0000000035A0: BF800001
	v_cndmask_b32_e32 v19, v16, v17, vcc                       // 0000000035A4: 00262310
	s_nop 3                                                    // 0000000035A8: BF800003
	v_readfirstlane_b32 s66, v19                               // 0000000035AC: 7E840513
	s_nop 3                                                    // 0000000035B0: BF800003
	s_mov_b32 s49, 0x7060302                                   // 0000000035B4: BEB100FF 07060302
	s_mov_b32 s50, 0x5040100                                   // 0000000035BC: BEB200FF 05040100
	v_mov_b32_e32 v41, 0xffff0000                              // 0000000035C4: 7E5202FF FFFF0000
	v_mov_b32_e32 v42, 0x7fff0000                              // 0000000035CC: 7E5402FF 7FFF0000
	v_mov_b32_e32 v43, 0x7fff                                  // 0000000035D4: 7E5602FF 00007FFF
	v_lshrrev_b32_e32 v16, 5, v0                               // 0000000035DC: 20200085
	v_sub_u32_e32 v16, 1, v16                                  // 0000000035E0: 6A202081
	v_mul_i32_i24_e32 v32, 0x80, v16                           // 0000000035E4: 0C4020FF 00000080
	v_and_b32_e32 v16, 31, v0                                  // 0000000035EC: 2620009F
	v_mul_i32_i24_e32 v16, 4, v16                              // 0000000035F0: 0C202084
	v_add_u32_e32 v32, v16, v32                                // 0000000035F4: 68404110
	s_mov_b32 s60, 0                                           // 0000000035F8: BEBC0080
	s_mov_b32 s35, 0                                           // 0000000035FC: BEA30080
	s_mul_i32 s43, 32, s61                                     // 000000003600: 922B3DA0
	s_mul_i32 s44, 32, s80                                     // 000000003604: 922C50A0
	s_mul_i32 s40, s92, s62                                    // 000000003608: 92283E5C
	s_mul_hi_u32 s42, s92, s62                                 // 00000000360C: 962A3E5C
	s_and_b32 s42, s42, 0xffff                                 // 000000003610: 862AFF2A 0000FFFF
	s_mul_i32 s41, s2, s32                                     // 000000003618: 92292002
	s_add_u32 s40, s40, s41                                    // 00000000361C: 80282928
	s_add_u32 s8, s40, s8                                      // 000000003620: 80080828
	s_addc_u32 s9, s42, s9                                     // 000000003624: 8209092A
	s_mul_i32 s40, s92, s83                                    // 000000003628: 9228535C
	s_mul_hi_u32 s42, s92, s83                                 // 00000000362C: 962A535C
	s_and_b32 s42, s42, 0xffff                                 // 000000003630: 862AFF2A 0000FFFF
	s_mul_i32 s41, s2, s84                                     // 000000003638: 92295402
	s_add_u32 s40, s40, s41                                    // 00000000363C: 80282928
	s_add_u32 s20, s40, s20                                    // 000000003640: 80141428
	s_addc_u32 s21, s42, s21                                   // 000000003644: 8215152A
	s_mul_i32 s40, s2, s86                                     // 000000003648: 92285602
	s_mul_i32 s41, s92, 4                                      // 00000000364C: 9229845C
	s_add_i32 s40, s40, s41                                    // 000000003650: 81282928
	s_add_u32 s24, s40, s24                                    // 000000003654: 80181828
	s_addc_u32 s25, 0, s25                                     // 000000003658: 82191980
	s_mul_i32 s40, s93, s61                                    // 00000000365C: 92283D5D
	s_mul_hi_u32 s42, s93, s61                                 // 000000003660: 962A3D5D
	s_and_b32 s42, s42, 0xffff                                 // 000000003664: 862AFF2A 0000FFFF
	s_mul_i32 s41, s66, s47                                    // 00000000366C: 92292F42
	s_add_u32 s40, s40, s41                                    // 000000003670: 80282928
	s_add_u32 s12, s40, s12                                    // 000000003674: 800C0C28
	s_addc_u32 s13, s42, s13                                   // 000000003678: 820D0D2A
	s_mul_i32 s40, s93, s80                                    // 00000000367C: 9228505D
	s_mul_hi_u32 s42, s93, s80                                 // 000000003680: 962A505D
	s_and_b32 s42, s42, 0xffff                                 // 000000003684: 862AFF2A 0000FFFF
	s_mul_i32 s41, s66, s81                                    // 00000000368C: 92295142
	s_add_u32 s40, s40, s41                                    // 000000003690: 80282928
	s_add_u32 s16, s40, s16                                    // 000000003694: 80101028
	s_addc_u32 s17, s42, s17                                   // 000000003698: 8211112A
	s_mov_b32 s52, 0                                           // 00000000369C: BEB40080
	s_mov_b32 s53, 32                                          // 0000000036A0: BEB500A0
	s_mov_b32 s36, 0                                           // 0000000036A4: BEA40080
	s_mov_b32 s29, 0x3fb8aa3b                                  // 0000000036A8: BE9D00FF 3FB8AA3B
	v_mov_b32_e32 v31, 0xff800000                              // 0000000036B0: 7E3E02FF FF800000
	s_mov_b32 s59, 0                                           // 0000000036B8: BEBB0080
	s_lshr_b32 s54, s7, 5                                      // 0000000036BC: 8F368507
	s_lshl_b32 s54, s54, 5                                     // 0000000036C0: 8E368536
	v_lshrrev_b32_e32 v16, 5, v0                               // 0000000036C4: 20200085
	v_mul_i32_i24_e32 v30, 4, v16                              // 0000000036C8: 0C3C2084
	s_mov_b32 s38, s7                                          // 0000000036CC: BEA60007
	s_mov_b32 s39, 0                                           // 0000000036D0: BEA70080
	v_mov_b32_e32 v17, s29                                     // 0000000036D4: 7E22021D
	v_mov_b32_e32 v16, s28                                     // 0000000036D8: 7E20021C
	v_mul_f32_e32 v16, s29, v16                                // 0000000036DC: 0A20201D
	v_rcp_f32_e32 v17, v17                                     // 0000000036E0: 7E224511
	v_mov_b32_e32 v22, 0                                       // 0000000036E4: 7E2C0280
	v_mov_b32_e32 v28, 0xff7fffff                              // 0000000036E8: 7E3802FF FF7FFFFF
	v_mov_b32_e32 v20, 0                                       // 0000000036F0: 7E280280
	v_mov_b32_e32 v22, 0                                       // 0000000036F4: 7E2C0280
	v_readfirstlane_b32 s56, v16                               // 0000000036F8: 7E700510
	v_readfirstlane_b32 s45, v17                               // 0000000036FC: 7E5A0511
	v_rcp_f32_e32 v16, v16                                     // 000000003700: 7E204510
	s_nop 1                                                    // 000000003704: BF800001
	v_mul_f32_e32 v16, v28, v16                                // 000000003708: 0A20211C
	v_max_f32_e32 v28, v28, v16                                // 00000000370C: 1638211C
	s_mul_i32 s63, s4, s31                                     // 000000003710: 923F1F04
	v_lshlrev_b32_e32 v8, 2, v0                                // 000000003714: 24100082
	s_mul_i32 s40, s5, s62                                     // 000000003718: 92283E05
	v_add_u32_e32 v8, s40, v8                                  // 00000000371C: 68101028
	s_mul_i32 s41, 8, s62                                      // 000000003720: 92293E88
	v_add_u32_e32 v9, s41, v8                                  // 000000003724: 68121029
	v_add_u32_e32 v10, s41, v9                                 // 000000003728: 68141229
	v_add_u32_e32 v11, s41, v10                                // 00000000372C: 68161429
	v_add_u32_e32 v8, s63, v8                                  // 000000003730: 6810103F
	v_add_u32_e32 v9, s63, v9                                  // 000000003734: 6812123F
	v_add_u32_e32 v10, s63, v10                                // 000000003738: 6814143F
	v_add_u32_e32 v11, s63, v11                                // 00000000373C: 6816163F
	s_mul_i32 s40, s5, 0x110                                   // 000000003740: 9228FF05 00000110
	s_add_u32 s58, 0x4400, s40                                 // 000000003748: 803A28FF 00004400
	s_mov_b32 s57, s56                                         // 000000003750: BEB90038
	s_mov_b32 s40, 0                                           // 000000003754: BEA80080
	s_add_u32 m0, s40, s58                                     // 000000003758: 807C3A28
	s_mul_i32 s40, 0, s62                                      // 00000000375C: 92283E80
	v_add_u32_e32 v4, s40, v8                                  // 000000003760: 68081028
	v_add_u32_e32 v5, s40, v9                                  // 000000003764: 680A1228
	v_add_u32_e32 v6, s40, v10                                 // 000000003768: 680C1428
	v_add_u32_e32 v7, s40, v11                                 // 00000000376C: 680E1628
	buffer_load_dword v4, s[8:11], s59 offen lds               // 000000003770: E0511000 3B020004
	s_add_u32 m0, 0x880, m0                                    // 000000003778: 807C7CFF 00000880
	buffer_load_dword v5, s[8:11], s59 offen lds               // 000000003780: E0511000 3B020005
	s_add_u32 m0, 0x880, m0                                    // 000000003788: 807C7CFF 00000880
	buffer_load_dword v6, s[8:11], s59 offen lds               // 000000003790: E0511000 3B020006
	s_add_u32 m0, 0x880, m0                                    // 000000003798: 807C7CFF 00000880
	buffer_load_dword v7, s[8:11], s59 offen lds               // 0000000037A0: E0511000 3B020007
	s_add_u32 m0, 0x880, m0                                    // 0000000037A8: 807C7CFF 00000880
	s_mov_b32 s40, 0x2200                                      // 0000000037B0: BEA800FF 00002200
	s_add_u32 m0, s40, s58                                     // 0000000037B8: 807C3A28
	s_mul_i32 s40, 32, s62                                     // 0000000037BC: 92283EA0
	v_add_u32_e32 v4, s40, v8                                  // 0000000037C0: 68081028
	v_add_u32_e32 v5, s40, v9                                  // 0000000037C4: 680A1228
	v_add_u32_e32 v6, s40, v10                                 // 0000000037C8: 680C1428
	v_add_u32_e32 v7, s40, v11                                 // 0000000037CC: 680E1628
	buffer_load_dword v4, s[8:11], s59 offen lds               // 0000000037D0: E0511000 3B020004
	s_add_u32 m0, 0x880, m0                                    // 0000000037D8: 807C7CFF 00000880
	buffer_load_dword v5, s[8:11], s59 offen lds               // 0000000037E0: E0511000 3B020005
	s_add_u32 m0, 0x880, m0                                    // 0000000037E8: 807C7CFF 00000880
	buffer_load_dword v6, s[8:11], s59 offen lds               // 0000000037F0: E0511000 3B020006
	s_add_u32 m0, 0x880, m0                                    // 0000000037F8: 807C7CFF 00000880
	buffer_load_dword v7, s[8:11], s59 offen lds               // 000000003800: E0511000 3B020007
	s_add_u32 m0, 0x880, m0                                    // 000000003808: 807C7CFF 00000880
	s_mov_b32 s40, 0x4400                                      // 000000003810: BEA800FF 00004400
	s_add_u32 m0, s40, s58                                     // 000000003818: 807C3A28
	s_mul_i32 s40, 64, s62                                     // 00000000381C: 92283EC0
	v_add_u32_e32 v4, s40, v8                                  // 000000003820: 68081028
	v_add_u32_e32 v5, s40, v9                                  // 000000003824: 680A1228
	v_add_u32_e32 v6, s40, v10                                 // 000000003828: 680C1428
	v_add_u32_e32 v7, s40, v11                                 // 00000000382C: 680E1628
	buffer_load_dword v4, s[8:11], s59 offen lds               // 000000003830: E0511000 3B020004
	s_add_u32 m0, 0x880, m0                                    // 000000003838: 807C7CFF 00000880
	buffer_load_dword v5, s[8:11], s59 offen lds               // 000000003840: E0511000 3B020005
	s_add_u32 m0, 0x880, m0                                    // 000000003848: 807C7CFF 00000880
	buffer_load_dword v6, s[8:11], s59 offen lds               // 000000003850: E0511000 3B020006
	s_add_u32 m0, 0x880, m0                                    // 000000003858: 807C7CFF 00000880
	buffer_load_dword v7, s[8:11], s59 offen lds               // 000000003860: E0511000 3B020007
	s_add_u32 m0, 0x880, m0                                    // 000000003868: 807C7CFF 00000880
	s_mov_b32 s40, 0x6600                                      // 000000003870: BEA800FF 00006600
	s_add_u32 m0, s40, s58                                     // 000000003878: 807C3A28
	s_mul_i32 s40, 0x60, s62                                   // 00000000387C: 92283EFF 00000060
	v_add_u32_e32 v4, s40, v8                                  // 000000003884: 68081028
	v_add_u32_e32 v5, s40, v9                                  // 000000003888: 680A1228
	v_add_u32_e32 v6, s40, v10                                 // 00000000388C: 680C1428
	v_add_u32_e32 v7, s40, v11                                 // 000000003890: 680E1628
	buffer_load_dword v4, s[8:11], s59 offen lds               // 000000003894: E0511000 3B020004
	s_add_u32 m0, 0x880, m0                                    // 00000000389C: 807C7CFF 00000880
	buffer_load_dword v5, s[8:11], s59 offen lds               // 0000000038A4: E0511000 3B020005
	s_add_u32 m0, 0x880, m0                                    // 0000000038AC: 807C7CFF 00000880
	buffer_load_dword v6, s[8:11], s59 offen lds               // 0000000038B4: E0511000 3B020006
	s_add_u32 m0, 0x880, m0                                    // 0000000038BC: 807C7CFF 00000880
	buffer_load_dword v7, s[8:11], s59 offen lds               // 0000000038C4: E0511000 3B020007
	s_add_u32 m0, 0x880, m0                                    // 0000000038CC: 807C7CFF 00000880
	v_mov_b32_e32 v96, 0                                       // 0000000038D4: 7EC00280
	v_mov_b32_e32 v97, 0                                       // 0000000038D8: 7EC20280
	v_mov_b32_e32 v98, 0                                       // 0000000038DC: 7EC40280
	v_mov_b32_e32 v99, 0                                       // 0000000038E0: 7EC60280
	v_mov_b32_e32 v100, 0                                      // 0000000038E4: 7EC80280
	v_mov_b32_e32 v101, 0                                      // 0000000038E8: 7ECA0280
	v_mov_b32_e32 v102, 0                                      // 0000000038EC: 7ECC0280
	v_mov_b32_e32 v103, 0                                      // 0000000038F0: 7ECE0280
	v_mov_b32_e32 v104, 0                                      // 0000000038F4: 7ED00280
	v_mov_b32_e32 v105, 0                                      // 0000000038F8: 7ED20280
	v_mov_b32_e32 v106, 0                                      // 0000000038FC: 7ED40280
	v_mov_b32_e32 v107, 0                                      // 000000003900: 7ED60280
	v_mov_b32_e32 v108, 0                                      // 000000003904: 7ED80280
	v_mov_b32_e32 v109, 0                                      // 000000003908: 7EDA0280
	v_mov_b32_e32 v110, 0                                      // 00000000390C: 7EDC0280
	v_mov_b32_e32 v111, 0                                      // 000000003910: 7EDE0280
	v_mov_b32_e32 v112, 0                                      // 000000003914: 7EE00280
	v_mov_b32_e32 v113, 0                                      // 000000003918: 7EE20280
	v_mov_b32_e32 v114, 0                                      // 00000000391C: 7EE40280
	v_mov_b32_e32 v115, 0                                      // 000000003920: 7EE60280
	v_mov_b32_e32 v116, 0                                      // 000000003924: 7EE80280
	v_mov_b32_e32 v117, 0                                      // 000000003928: 7EEA0280
	v_mov_b32_e32 v118, 0                                      // 00000000392C: 7EEC0280
	v_mov_b32_e32 v119, 0                                      // 000000003930: 7EEE0280
	v_mov_b32_e32 v120, 0                                      // 000000003934: 7EF00280
	v_mov_b32_e32 v121, 0                                      // 000000003938: 7EF20280
	v_mov_b32_e32 v122, 0                                      // 00000000393C: 7EF40280
	v_mov_b32_e32 v123, 0                                      // 000000003940: 7EF60280
	v_mov_b32_e32 v124, 0                                      // 000000003944: 7EF80280
	v_mov_b32_e32 v125, 0                                      // 000000003948: 7EFA0280
	v_mov_b32_e32 v126, 0                                      // 00000000394C: 7EFC0280
	v_mov_b32_e32 v127, 0                                      // 000000003950: 7EFE0280
	v_lshrrev_b32_e32 v16, 5, v0                               // 000000003954: 20200085
	v_mul_i32_i24_e32 v17, 4, v16                              // 000000003958: 0C222084
	v_and_b32_e32 v16, 31, v0                                  // 00000000395C: 2620009F
	v_mul_i32_i24_e32 v2, 0x44, v16                            // 000000003960: 0C0420FF 00000044
	v_add_u32_e32 v2, v2, v17                                  // 000000003968: 68042302
	v_lshlrev_b32_e32 v2, 2, v2                                // 00000000396C: 24040482
	s_and_b32 s40, 3, s5                                       // 000000003970: 86280583
	s_mul_i32 s40, s40, 0x2200                                 // 000000003974: 9228FF28 00002200
	v_add_u32_e32 v2, s40, v2                                  // 00000000397C: 68040428
	s_waitcnt vmcnt(0) expcnt(0) lgkmcnt(0)                    // 000000003980: BF8C0000
	s_barrier                                                  // 000000003984: BF8A0000
	s_cmp_lt_i32 s5, 4                                         // 000000003988: BF048405
	s_cbranch_scc0 label_01B4                                  // 00000000398C: BF840010
	ds_read_b128 v[160:163], v2 offset:17408                   // 000000003990: D9FE4400 A0000002
	ds_read_b128 v[164:167], v2 offset:17440                   // 000000003998: D9FE4420 A4000002
	ds_read_b128 v[168:171], v2 offset:17472                   // 0000000039A0: D9FE4440 A8000002
	ds_read_b128 v[172:175], v2 offset:17504                   // 0000000039A8: D9FE4460 AC000002
	ds_read_b128 v[176:179], v2 offset:17536                   // 0000000039B0: D9FE4480 B0000002
	ds_read_b128 v[180:183], v2 offset:17568                   // 0000000039B8: D9FE44A0 B4000002
	ds_read_b128 v[184:187], v2 offset:17600                   // 0000000039C0: D9FE44C0 B8000002
	ds_read_b128 v[188:191], v2 offset:17632                   // 0000000039C8: D9FE44E0 BC000002

00000000000039d0 <label_01B4>:
	s_waitcnt vmcnt(0) expcnt(0) lgkmcnt(0)                    // 0000000039D0: BF8C0000
	s_barrier                                                  // 0000000039D4: BF8A0000
	s_mov_b32 s40, 0                                           // 0000000039D8: BEA80080
	s_add_u32 m0, s40, s58                                     // 0000000039DC: 807C3A28
	s_mul_i32 s40, 0x80, s62                                   // 0000000039E0: 92283EFF 00000080
	v_add_u32_e32 v4, s40, v8                                  // 0000000039E8: 68081028
	v_add_u32_e32 v5, s40, v9                                  // 0000000039EC: 680A1228
	v_add_u32_e32 v6, s40, v10                                 // 0000000039F0: 680C1428
	v_add_u32_e32 v7, s40, v11                                 // 0000000039F4: 680E1628
	buffer_load_dword v4, s[8:11], s59 offen lds               // 0000000039F8: E0511000 3B020004
	s_add_u32 m0, 0x880, m0                                    // 000000003A00: 807C7CFF 00000880
	buffer_load_dword v5, s[8:11], s59 offen lds               // 000000003A08: E0511000 3B020005
	s_add_u32 m0, 0x880, m0                                    // 000000003A10: 807C7CFF 00000880
	buffer_load_dword v6, s[8:11], s59 offen lds               // 000000003A18: E0511000 3B020006
	s_add_u32 m0, 0x880, m0                                    // 000000003A20: 807C7CFF 00000880
	buffer_load_dword v7, s[8:11], s59 offen lds               // 000000003A28: E0511000 3B020007
	s_add_u32 m0, 0x880, m0                                    // 000000003A30: 807C7CFF 00000880
	s_mov_b32 s40, 0x2200                                      // 000000003A38: BEA800FF 00002200
	s_add_u32 m0, s40, s58                                     // 000000003A40: 807C3A28
	s_mul_i32 s40, 0xa0, s62                                   // 000000003A44: 92283EFF 000000A0
	v_add_u32_e32 v4, s40, v8                                  // 000000003A4C: 68081028
	v_add_u32_e32 v5, s40, v9                                  // 000000003A50: 680A1228
	v_add_u32_e32 v6, s40, v10                                 // 000000003A54: 680C1428
	v_add_u32_e32 v7, s40, v11                                 // 000000003A58: 680E1628
	buffer_load_dword v4, s[8:11], s59 offen lds               // 000000003A5C: E0511000 3B020004
	s_add_u32 m0, 0x880, m0                                    // 000000003A64: 807C7CFF 00000880
	buffer_load_dword v5, s[8:11], s59 offen lds               // 000000003A6C: E0511000 3B020005
	s_add_u32 m0, 0x880, m0                                    // 000000003A74: 807C7CFF 00000880
	buffer_load_dword v6, s[8:11], s59 offen lds               // 000000003A7C: E0511000 3B020006
	s_add_u32 m0, 0x880, m0                                    // 000000003A84: 807C7CFF 00000880
	buffer_load_dword v7, s[8:11], s59 offen lds               // 000000003A8C: E0511000 3B020007
	s_add_u32 m0, 0x880, m0                                    // 000000003A94: 807C7CFF 00000880
	s_mov_b32 s40, 0x4400                                      // 000000003A9C: BEA800FF 00004400
	s_add_u32 m0, s40, s58                                     // 000000003AA4: 807C3A28
	s_mul_i32 s40, 0xc0, s62                                   // 000000003AA8: 92283EFF 000000C0
	v_add_u32_e32 v4, s40, v8                                  // 000000003AB0: 68081028
	v_add_u32_e32 v5, s40, v9                                  // 000000003AB4: 680A1228
	v_add_u32_e32 v6, s40, v10                                 // 000000003AB8: 680C1428
	v_add_u32_e32 v7, s40, v11                                 // 000000003ABC: 680E1628
	buffer_load_dword v4, s[8:11], s59 offen lds               // 000000003AC0: E0511000 3B020004
	s_add_u32 m0, 0x880, m0                                    // 000000003AC8: 807C7CFF 00000880
	buffer_load_dword v5, s[8:11], s59 offen lds               // 000000003AD0: E0511000 3B020005
	s_add_u32 m0, 0x880, m0                                    // 000000003AD8: 807C7CFF 00000880
	buffer_load_dword v6, s[8:11], s59 offen lds               // 000000003AE0: E0511000 3B020006
	s_add_u32 m0, 0x880, m0                                    // 000000003AE8: 807C7CFF 00000880
	buffer_load_dword v7, s[8:11], s59 offen lds               // 000000003AF0: E0511000 3B020007
	s_add_u32 m0, 0x880, m0                                    // 000000003AF8: 807C7CFF 00000880
	s_mov_b32 s40, 0x6600                                      // 000000003B00: BEA800FF 00006600
	s_add_u32 m0, s40, s58                                     // 000000003B08: 807C3A28
	s_mul_i32 s40, 0xe0, s62                                   // 000000003B0C: 92283EFF 000000E0
	v_add_u32_e32 v4, s40, v8                                  // 000000003B14: 68081028
	v_add_u32_e32 v5, s40, v9                                  // 000000003B18: 680A1228
	v_add_u32_e32 v6, s40, v10                                 // 000000003B1C: 680C1428
	v_add_u32_e32 v7, s40, v11                                 // 000000003B20: 680E1628
	buffer_load_dword v4, s[8:11], s59 offen lds               // 000000003B24: E0511000 3B020004
	s_add_u32 m0, 0x880, m0                                    // 000000003B2C: 807C7CFF 00000880
	buffer_load_dword v5, s[8:11], s59 offen lds               // 000000003B34: E0511000 3B020005
	s_add_u32 m0, 0x880, m0                                    // 000000003B3C: 807C7CFF 00000880
	buffer_load_dword v6, s[8:11], s59 offen lds               // 000000003B44: E0511000 3B020006
	s_add_u32 m0, 0x880, m0                                    // 000000003B4C: 807C7CFF 00000880
	buffer_load_dword v7, s[8:11], s59 offen lds               // 000000003B54: E0511000 3B020007
	s_add_u32 m0, 0x880, m0                                    // 000000003B5C: 807C7CFF 00000880
	v_mov_b32_e32 v128, 0                                      // 000000003B64: 7F000280
	v_mov_b32_e32 v129, 0                                      // 000000003B68: 7F020280
	v_mov_b32_e32 v130, 0                                      // 000000003B6C: 7F040280
	v_mov_b32_e32 v131, 0                                      // 000000003B70: 7F060280
	v_mov_b32_e32 v132, 0                                      // 000000003B74: 7F080280
	v_mov_b32_e32 v133, 0                                      // 000000003B78: 7F0A0280
	v_mov_b32_e32 v134, 0                                      // 000000003B7C: 7F0C0280
	v_mov_b32_e32 v135, 0                                      // 000000003B80: 7F0E0280
	v_mov_b32_e32 v136, 0                                      // 000000003B84: 7F100280
	v_mov_b32_e32 v137, 0                                      // 000000003B88: 7F120280
	v_mov_b32_e32 v138, 0                                      // 000000003B8C: 7F140280
	v_mov_b32_e32 v139, 0                                      // 000000003B90: 7F160280
	v_mov_b32_e32 v140, 0                                      // 000000003B94: 7F180280
	v_mov_b32_e32 v141, 0                                      // 000000003B98: 7F1A0280
	v_mov_b32_e32 v142, 0                                      // 000000003B9C: 7F1C0280
	v_mov_b32_e32 v143, 0                                      // 000000003BA0: 7F1E0280
	v_mov_b32_e32 v144, 0                                      // 000000003BA4: 7F200280
	v_mov_b32_e32 v145, 0                                      // 000000003BA8: 7F220280
	v_mov_b32_e32 v146, 0                                      // 000000003BAC: 7F240280
	v_mov_b32_e32 v147, 0                                      // 000000003BB0: 7F260280
	v_mov_b32_e32 v148, 0                                      // 000000003BB4: 7F280280
	v_mov_b32_e32 v149, 0                                      // 000000003BB8: 7F2A0280
	v_mov_b32_e32 v150, 0                                      // 000000003BBC: 7F2C0280
	v_mov_b32_e32 v151, 0                                      // 000000003BC0: 7F2E0280
	v_mov_b32_e32 v152, 0                                      // 000000003BC4: 7F300280
	v_mov_b32_e32 v153, 0                                      // 000000003BC8: 7F320280
	v_mov_b32_e32 v154, 0                                      // 000000003BCC: 7F340280
	v_mov_b32_e32 v155, 0                                      // 000000003BD0: 7F360280
	v_mov_b32_e32 v156, 0                                      // 000000003BD4: 7F380280
	v_mov_b32_e32 v157, 0                                      // 000000003BD8: 7F3A0280
	v_mov_b32_e32 v158, 0                                      // 000000003BDC: 7F3C0280
	v_mov_b32_e32 v159, 0                                      // 000000003BE0: 7F3E0280
	s_cmp_le_u32 s7, 0                                         // 000000003BE4: BF0B8007
	s_cbranch_scc1 label_0EDA                                  // 000000003BE8: BF850C9F
	v_lshrrev_b32_e32 v16, 5, v0                               // 000000003BEC: 20200085
	v_mul_i32_i24_e32 v17, 4, v16                              // 000000003BF0: 0C222084
	v_and_b32_e32 v16, 31, v0                                  // 000000003BF4: 2620009F
	v_mul_i32_i24_e32 v12, 0x44, v16                           // 000000003BF8: 0C1820FF 00000044
	v_add_u32_e32 v12, v12, v17                                // 000000003C00: 6818230C
	v_lshlrev_b32_e32 v12, 2, v12                              // 000000003C04: 24181882
	v_lshrrev_b32_e32 v16, 5, v0                               // 000000003C08: 20200085
	v_mul_i32_i24_e32 v17, 0x80, v16                           // 000000003C0C: 0C2220FF 00000080
	v_and_b32_e32 v16, 30, v0                                  // 000000003C14: 2620009E
	v_add_u32_e32 v13, v17, v16                                // 000000003C18: 681A2111
	v_and_b32_e32 v16, 1, v0                                   // 000000003C1C: 26200081
	v_mul_i32_i24_e32 v16, 0x410, v16                          // 000000003C20: 0C2020FF 00000410
	v_add_u32_e32 v13, v16, v13                                // 000000003C28: 681A1B10
	v_lshlrev_b32_e32 v13, 2, v13                              // 000000003C2C: 241A1A82
	v_lshlrev_b32_e32 v14, 1, v0                               // 000000003C30: 241C0081
	s_mul_i32 s40, s5, 0x80                                    // 000000003C34: 9228FF05 00000080
	v_add_u32_e32 v14, s40, v14                                // 000000003C3C: 681C1C28
	v_lshlrev_b32_e32 v14, 2, v14                              // 000000003C40: 241C1C82
	v_lshlrev_b32_e32 v4, 2, v0                                // 000000003C44: 24080082
	s_mul_i32 s40, s5, s61                                     // 000000003C48: 92283D05
	v_add_u32_e32 v4, s40, v4                                  // 000000003C4C: 68080828
	s_mul_i32 s41, 8, s61                                      // 000000003C50: 92293D88
	v_add_u32_e32 v5, s41, v4                                  // 000000003C54: 680A0829
	v_add_u32_e32 v6, s41, v5                                  // 000000003C58: 680C0A29
	v_add_u32_e32 v7, s41, v6                                  // 000000003C5C: 680E0C29
	s_mul_i32 s40, s5, 0x110                                   // 000000003C60: 9228FF05 00000110
	s_add_u32 s68, 0, s40                                      // 000000003C68: 80442880
	s_add_u32 s69, 0x2200, s68                                 // 000000003C6C: 804544FF 00002200
	v_lshlrev_b32_e32 v8, 2, v0                                // 000000003C74: 24100082
	s_mul_i32 s40, s5, s80                                     // 000000003C78: 92285005
	s_mul_i32 s40, s40, 4                                      // 000000003C7C: 92288428
	v_add_u32_e32 v8, s40, v8                                  // 000000003C80: 68101028
	v_add_u32_e32 v9, s80, v8                                  // 000000003C84: 68121050
	v_add_u32_e32 v10, s80, v9                                 // 000000003C88: 68141250
	v_add_u32_e32 v11, s80, v10                                // 000000003C8C: 68161450
	s_waitcnt vmcnt(0) expcnt(0) lgkmcnt(0)                    // 000000003C90: BF8C0000
	s_barrier                                                  // 000000003C94: BF8A0000
	s_cmp_lt_i32 s5, 4                                         // 000000003C98: BF048405
	s_cbranch_scc1 label_0278                                  // 000000003C9C: BF850010
	ds_read_b128 v[160:163], v2 offset:17408                   // 000000003CA0: D9FE4400 A0000002
	ds_read_b128 v[164:167], v2 offset:17440                   // 000000003CA8: D9FE4420 A4000002
	ds_read_b128 v[168:171], v2 offset:17472                   // 000000003CB0: D9FE4440 A8000002
	ds_read_b128 v[172:175], v2 offset:17504                   // 000000003CB8: D9FE4460 AC000002
	ds_read_b128 v[176:179], v2 offset:17536                   // 000000003CC0: D9FE4480 B0000002
	ds_read_b128 v[180:183], v2 offset:17568                   // 000000003CC8: D9FE44A0 B4000002
	ds_read_b128 v[184:187], v2 offset:17600                   // 000000003CD0: D9FE44C0 B8000002
	ds_read_b128 v[188:191], v2 offset:17632                   // 000000003CD8: D9FE44E0 BC000002

0000000000003ce0 <label_0278>:
	s_waitcnt vmcnt(0) expcnt(0) lgkmcnt(0)                    // 000000003CE0: BF8C0000
	s_barrier                                                  // 000000003CE4: BF8A0000
	s_mov_b32 m0, s68                                          // 000000003CE8: BEFC0044
	buffer_load_dword v4, s[12:15], s60 offen lds              // 000000003CEC: E0511000 3C030004
	s_add_u32 m0, 0x880, m0                                    // 000000003CF4: 807C7CFF 00000880
	buffer_load_dword v5, s[12:15], s60 offen lds              // 000000003CFC: E0511000 3C030005
	s_add_u32 m0, 0x880, m0                                    // 000000003D04: 807C7CFF 00000880
	buffer_load_dword v6, s[12:15], s60 offen lds              // 000000003D0C: E0511000 3C030006
	s_add_u32 m0, 0x880, m0                                    // 000000003D14: 807C7CFF 00000880
	buffer_load_dword v7, s[12:15], s60 offen lds              // 000000003D1C: E0511000 3C030007
	s_add_u32 m0, 0x880, m0                                    // 000000003D24: 807C7CFF 00000880
	s_add_i32 s60, s43, s60                                    // 000000003D2C: 813C3C2B
	s_waitcnt vmcnt(0)                                         // 000000003D30: BF8C0F70
	s_barrier                                                  // 000000003D34: BF8A0000
	ds_read_b128 v[192:195], v12                               // 000000003D38: D9FE0000 C000000C
	ds_read_b128 v[196:199], v12 offset:32                     // 000000003D40: D9FE0020 C400000C
	ds_read_b128 v[200:203], v12 offset:64                     // 000000003D48: D9FE0040 C800000C
	ds_read_b128 v[204:207], v12 offset:96                     // 000000003D50: D9FE0060 CC00000C
	ds_read_b128 v[208:211], v12 offset:128                    // 000000003D58: D9FE0080 D000000C
	ds_read_b128 v[212:215], v12 offset:160                    // 000000003D60: D9FE00A0 D400000C
	ds_read_b128 v[216:219], v12 offset:192                    // 000000003D68: D9FE00C0 D800000C
	ds_read_b128 v[220:223], v12 offset:224                    // 000000003D70: D9FE00E0 DC00000C
	s_waitcnt lgkmcnt(0)                                       // 000000003D78: BF8CC07F
	s_barrier                                                  // 000000003D7C: BF8A0000
	s_mov_b32 m0, s69                                          // 000000003D80: BEFC0045
	v_mfma_f32_32x32x8_bf16 v[64:79], v[192:193], v[160:161], 0// 000000003D84: D3E00040 020341C0
	buffer_load_dword v4, s[12:15], s60 offen lds              // 000000003D8C: E0511000 3C030004
	s_add_u32 m0, 0x880, m0                                    // 000000003D94: 807C7CFF 00000880
	v_mfma_f32_32x32x8_bf16 v[64:79], v[194:195], v[162:163], v[64:79]// 000000003D9C: D3E00040 050345C2
	v_mfma_f32_32x32x8_bf16 v[64:79], v[196:197], v[164:165], v[64:79]// 000000003DA4: D3E00040 050349C4
	buffer_load_dword v5, s[12:15], s60 offen lds              // 000000003DAC: E0511000 3C030005
	s_add_u32 m0, 0x880, m0                                    // 000000003DB4: 807C7CFF 00000880
	v_mfma_f32_32x32x8_bf16 v[64:79], v[198:199], v[166:167], v[64:79]// 000000003DBC: D3E00040 05034DC6
	v_mfma_f32_32x32x8_bf16 v[64:79], v[200:201], v[168:169], v[64:79]// 000000003DC4: D3E00040 050351C8
	buffer_load_dword v6, s[12:15], s60 offen lds              // 000000003DCC: E0511000 3C030006
	s_add_u32 m0, 0x880, m0                                    // 000000003DD4: 807C7CFF 00000880
	v_mfma_f32_32x32x8_bf16 v[64:79], v[202:203], v[170:171], v[64:79]// 000000003DDC: D3E00040 050355CA
	v_mfma_f32_32x32x8_bf16 v[64:79], v[204:205], v[172:173], v[64:79]// 000000003DE4: D3E00040 050359CC
	buffer_load_dword v7, s[12:15], s60 offen lds              // 000000003DEC: E0511000 3C030007
	s_add_u32 m0, 0x880, m0                                    // 000000003DF4: 807C7CFF 00000880
	v_mfma_f32_32x32x8_bf16 v[64:79], v[206:207], v[174:175], v[64:79]// 000000003DFC: D3E00040 05035DCE
	v_mfma_f32_32x32x8_bf16 v[64:79], v[208:209], v[176:177], v[64:79]// 000000003E04: D3E00040 050361D0
	buffer_load_dword v224, v8, s[16:19], s35 offen            // 000000003E0C: E0501000 2304E008
	v_mfma_f32_32x32x8_bf16 v[64:79], v[210:211], v[178:179], v[64:79]// 000000003E14: D3E00040 050365D2
	v_mfma_f32_32x32x8_bf16 v[64:79], v[212:213], v[180:181], v[64:79]// 000000003E1C: D3E00040 050369D4
	buffer_load_dword v225, v9, s[16:19], s35 offen            // 000000003E24: E0501000 2304E109
	v_mfma_f32_32x32x8_bf16 v[64:79], v[214:215], v[182:183], v[64:79]// 000000003E2C: D3E00040 05036DD6
	v_mfma_f32_32x32x8_bf16 v[64:79], v[216:217], v[184:185], v[64:79]// 000000003E34: D3E00040 050371D8
	buffer_load_dword v226, v10, s[16:19], s35 offen           // 000000003E3C: E0501000 2304E20A
	v_mfma_f32_32x32x8_bf16 v[64:79], v[218:219], v[186:187], v[64:79]// 000000003E44: D3E00040 050375DA
	v_mfma_f32_32x32x8_bf16 v[64:79], v[220:221], v[188:189], v[64:79]// 000000003E4C: D3E00040 050379DC
	buffer_load_dword v227, v11, s[16:19], s35 offen           // 000000003E54: E0501000 2304E30B
	v_mfma_f32_32x32x8_bf16 v[64:79], v[222:223], v[190:191], v[64:79]// 000000003E5C: D3E00040 05037DDE
	s_add_i32 s60, s43, s60                                    // 000000003E64: 813C3C2B
	s_add_i32 s35, s44, s35                                    // 000000003E68: 8123232C
	s_cmp_lt_i32 s52, s54                                      // 000000003E6C: BF043634
	s_cbranch_scc1 label_0320                                  // 000000003E70: BF850043
	s_sub_i32 s40, s7, s52                                     // 000000003E74: 81A83407
	v_sub_i32 v16, s40, v30                                    // 000000003E78: D29D0010 00023C28
	v_cmp_lt_i32_e64 s[72:73], 0, v16                          // 000000003E80: D0C10048 00022080
	v_cmp_lt_i32_e64 s[74:75], 1, v16                          // 000000003E88: D0C1004A 00022081
	v_cndmask_b32_e64 v64, v31, v64, s[72:73]                  // 000000003E90: D1000040 0122811F
	v_cndmask_b32_e64 v65, v31, v65, s[74:75]                  // 000000003E98: D1000041 012A831F
	v_cmp_lt_i32_e64 s[72:73], 2, v16                          // 000000003EA0: D0C10048 00022082
	v_cmp_lt_i32_e64 s[74:75], 3, v16                          // 000000003EA8: D0C1004A 00022083
	v_cndmask_b32_e64 v66, v31, v66, s[72:73]                  // 000000003EB0: D1000042 0122851F
	v_cndmask_b32_e64 v67, v31, v67, s[74:75]                  // 000000003EB8: D1000043 012A871F
	v_cmp_lt_i32_e64 s[72:73], 8, v16                          // 000000003EC0: D0C10048 00022088
	v_cmp_lt_i32_e64 s[74:75], 9, v16                          // 000000003EC8: D0C1004A 00022089
	v_cndmask_b32_e64 v68, v31, v68, s[72:73]                  // 000000003ED0: D1000044 0122891F
	v_cndmask_b32_e64 v69, v31, v69, s[74:75]                  // 000000003ED8: D1000045 012A8B1F
	v_cmp_lt_i32_e64 s[72:73], 10, v16                         // 000000003EE0: D0C10048 0002208A
	v_cmp_lt_i32_e64 s[74:75], 11, v16                         // 000000003EE8: D0C1004A 0002208B
	v_cndmask_b32_e64 v70, v31, v70, s[72:73]                  // 000000003EF0: D1000046 01228D1F
	v_cndmask_b32_e64 v71, v31, v71, s[74:75]                  // 000000003EF8: D1000047 012A8F1F
	v_cmp_lt_i32_e64 s[72:73], 16, v16                         // 000000003F00: D0C10048 00022090
	v_cmp_lt_i32_e64 s[74:75], 17, v16                         // 000000003F08: D0C1004A 00022091
	v_cndmask_b32_e64 v72, v31, v72, s[72:73]                  // 000000003F10: D1000048 0122911F
	v_cndmask_b32_e64 v73, v31, v73, s[74:75]                  // 000000003F18: D1000049 012A931F
	v_cmp_lt_i32_e64 s[72:73], 18, v16                         // 000000003F20: D0C10048 00022092
	v_cmp_lt_i32_e64 s[74:75], 19, v16                         // 000000003F28: D0C1004A 00022093
	v_cndmask_b32_e64 v74, v31, v74, s[72:73]                  // 000000003F30: D100004A 0122951F
	v_cndmask_b32_e64 v75, v31, v75, s[74:75]                  // 000000003F38: D100004B 012A971F
	v_cmp_lt_i32_e64 s[72:73], 24, v16                         // 000000003F40: D0C10048 00022098
	v_cmp_lt_i32_e64 s[74:75], 25, v16                         // 000000003F48: D0C1004A 00022099
	v_cndmask_b32_e64 v76, v31, v76, s[72:73]                  // 000000003F50: D100004C 0122991F
	v_cndmask_b32_e64 v77, v31, v77, s[74:75]                  // 000000003F58: D100004D 012A9B1F
	v_cmp_lt_i32_e64 s[72:73], 26, v16                         // 000000003F60: D0C10048 0002209A
	v_cmp_lt_i32_e64 s[74:75], 27, v16                         // 000000003F68: D0C1004A 0002209B
	v_cndmask_b32_e64 v78, v31, v78, s[72:73]                  // 000000003F70: D100004E 01229D1F
	v_cndmask_b32_e64 v79, v31, v79, s[74:75]                  // 000000003F78: D100004F 012A9F1F

0000000000003f80 <label_0320>:
	s_nop 0                                                    // 000000003F80: BF800000
	v_max3_f32 v25, v64, v65, v28                              // 000000003F84: D1D30019 04728340
	v_max3_f32 v25, v66, v67, v25                              // 000000003F8C: D1D30019 04668742
	v_max3_f32 v25, v68, v69, v25                              // 000000003F94: D1D30019 04668B44
	v_max3_f32 v25, v70, v71, v25                              // 000000003F9C: D1D30019 04668F46
	v_max3_f32 v25, v72, v73, v25                              // 000000003FA4: D1D30019 04669348
	v_max3_f32 v25, v74, v75, v25                              // 000000003FAC: D1D30019 0466974A
	v_max3_f32 v25, v76, v77, v25                              // 000000003FB4: D1D30019 04669B4C
	v_max3_f32 v25, v78, v79, v25                              // 000000003FBC: D1D30019 04669F4E
	ds_permute_b32 v24, v32, v25                               // 000000003FC4: D87C0000 18001920
	v_nop                                                      // 000000003FCC: 7E000000
	s_nop 0                                                    // 000000003FD0: BF800000
	v_nop                                                      // 000000003FD4: 7E000000
	s_waitcnt lgkmcnt(0)                                       // 000000003FD8: BF8CC07F
	v_max_f32_e32 v25, v24, v25                                // 000000003FDC: 16323318
	v_mov_b32_e32 v20, 0                                       // 000000003FE0: 7E280280
	v_mov_b32_e32 v28, v25                                     // 000000003FE4: 7E380319
	v_mul_f32_e32 v27, s56, v25                                // 000000003FE8: 0A363238
	v_mul_f32_e32 v20, s56, v20                                // 000000003FEC: 0A282838
	v_exp_f32_e32 v20, v20                                     // 000000003FF0: 7E284114
	v_fma_f32 v64, v64, s56, -v27                              // 000000003FF4: D1CB0040 846C7140
	v_fma_f32 v65, v65, s56, -v27                              // 000000003FFC: D1CB0041 846C7141
	v_fma_f32 v66, v66, s56, -v27                              // 000000004004: D1CB0042 846C7142
	v_fma_f32 v67, v67, s56, -v27                              // 00000000400C: D1CB0043 846C7143
	v_fma_f32 v68, v68, s56, -v27                              // 000000004014: D1CB0044 846C7144
	v_fma_f32 v69, v69, s56, -v27                              // 00000000401C: D1CB0045 846C7145
	v_fma_f32 v70, v70, s56, -v27                              // 000000004024: D1CB0046 846C7146
	v_fma_f32 v71, v71, s56, -v27                              // 00000000402C: D1CB0047 846C7147
	v_fma_f32 v72, v72, s56, -v27                              // 000000004034: D1CB0048 846C7148
	v_fma_f32 v73, v73, s56, -v27                              // 00000000403C: D1CB0049 846C7149
	v_fma_f32 v74, v74, s56, -v27                              // 000000004044: D1CB004A 846C714A
	v_fma_f32 v75, v75, s56, -v27                              // 00000000404C: D1CB004B 846C714B
	v_fma_f32 v76, v76, s56, -v27                              // 000000004054: D1CB004C 846C714C
	v_fma_f32 v77, v77, s56, -v27                              // 00000000405C: D1CB004D 846C714D
	v_fma_f32 v78, v78, s56, -v27                              // 000000004064: D1CB004E 846C714E
	v_fma_f32 v79, v79, s56, -v27                              // 00000000406C: D1CB004F 846C714F
	v_exp_f32_e32 v64, v64                                     // 000000004074: 7E804140
	v_exp_f32_e32 v65, v65                                     // 000000004078: 7E824141
	v_exp_f32_e32 v66, v66                                     // 00000000407C: 7E844142
	v_exp_f32_e32 v67, v67                                     // 000000004080: 7E864143
	v_exp_f32_e32 v68, v68                                     // 000000004084: 7E884144
	v_exp_f32_e32 v69, v69                                     // 000000004088: 7E8A4145
	v_exp_f32_e32 v70, v70                                     // 00000000408C: 7E8C4146
	v_exp_f32_e32 v71, v71                                     // 000000004090: 7E8E4147
	v_exp_f32_e32 v72, v72                                     // 000000004094: 7E904148
	v_exp_f32_e32 v73, v73                                     // 000000004098: 7E924149
	v_exp_f32_e32 v74, v74                                     // 00000000409C: 7E94414A
	v_exp_f32_e32 v75, v75                                     // 0000000040A0: 7E96414B
	v_exp_f32_e32 v76, v76                                     // 0000000040A4: 7E98414C
	v_exp_f32_e32 v77, v77                                     // 0000000040A8: 7E9A414D
	v_exp_f32_e32 v78, v78                                     // 0000000040AC: 7E9C414E
	s_addk_i32 s39, 0x20                                       // 0000000040B0: B7270020
	s_add_i32 s52, s52, s53                                    // 0000000040B4: 81343534
	s_mov_b32 m0, s68                                          // 0000000040B8: BEFC0044
	buffer_load_dword v4, s[12:15], s60 offen lds              // 0000000040BC: E0511000 3C030004
	s_add_u32 m0, 0x880, m0                                    // 0000000040C4: 807C7CFF 00000880
	buffer_load_dword v5, s[12:15], s60 offen lds              // 0000000040CC: E0511000 3C030005
	s_add_u32 m0, 0x880, m0                                    // 0000000040D4: 807C7CFF 00000880
	buffer_load_dword v6, s[12:15], s60 offen lds              // 0000000040DC: E0511000 3C030006
	s_add_u32 m0, 0x880, m0                                    // 0000000040E4: 807C7CFF 00000880
	buffer_load_dword v7, s[12:15], s60 offen lds              // 0000000040EC: E0511000 3C030007
	s_add_u32 m0, 0x880, m0                                    // 0000000040F4: 807C7CFF 00000880
	s_add_i32 s60, s43, s60                                    // 0000000040FC: 813C3C2B
	s_waitcnt vmcnt(8)                                         // 000000004100: BF8C0F78
	s_barrier                                                  // 000000004104: BF8A0000
	s_cmp_lt_i32 s39, s38                                      // 000000004108: BF042627
	s_cbranch_scc0 label_0C5E                                  // 00000000410C: BF8408DA
	s_cmp_lt_i32 s5, 4                                         // 000000004110: BF048405
	s_cbranch_scc0 label_0803                                  // 000000004114: BF84047D
	buffer_load_dword v228, v8, s[16:19], s35 offen            // 000000004118: E0501000 2304E408
	buffer_load_dword v229, v9, s[16:19], s35 offen            // 000000004120: E0501000 2304E509
	buffer_load_dword v230, v10, s[16:19], s35 offen           // 000000004128: E0501000 2304E60A
	buffer_load_dword v231, v11, s[16:19], s35 offen           // 000000004130: E0501000 2304E70B
	s_add_i32 s35, s44, s35                                    // 000000004138: 8123232C
	ds_read_b128 v[192:195], v12 offset:8704                   // 00000000413C: D9FE2200 C000000C
	ds_read_b128 v[196:199], v12 offset:8736                   // 000000004144: D9FE2220 C400000C
	ds_read_b128 v[200:203], v12 offset:8768                   // 00000000414C: D9FE2240 C800000C
	ds_read_b128 v[204:207], v12 offset:8800                   // 000000004154: D9FE2260 CC00000C
	ds_read_b128 v[208:211], v12 offset:8832                   // 00000000415C: D9FE2280 D000000C
	ds_read_b128 v[212:215], v12 offset:8864                   // 000000004164: D9FE22A0 D400000C
	ds_read_b128 v[216:219], v12 offset:8896                   // 00000000416C: D9FE22C0 D800000C
	ds_read_b128 v[220:223], v12 offset:8928                   // 000000004174: D9FE22E0 DC00000C
	s_setprio 0                                                // 00000000417C: BF8F0000
	s_barrier                                                  // 000000004180: BF8A0000

0000000000004184 <label_03A1>:
	s_waitcnt lgkmcnt(0)                                       // 000000004184: BF8CC07F
	v_mfma_f32_32x32x8_bf16 v[80:95], v[192:193], v[160:161], 0// 000000004188: D3E00050 020341C0
	v_exp_f32_e32 v79, v79                                     // 000000004190: 7E9E414F
	v_mul_f32_e32 v22, v20, v22                                // 000000004194: 0A2C2D14
	v_add_f32_e32 v38, v65, v64                                // 000000004198: 024C8141
	v_add_f32_e32 v38, v66, v38                                // 00000000419C: 024C4D42
	v_mfma_f32_32x32x8_bf16 v[80:95], v[194:195], v[162:163], v[80:95]// 0000000041A0: D3E00050 054345C2
	v_add_f32_e32 v38, v67, v38                                // 0000000041A8: 024C4D43
	v_add_f32_e32 v38, v68, v38                                // 0000000041AC: 024C4D44
	v_add_f32_e32 v38, v69, v38                                // 0000000041B0: 024C4D45
	v_add_f32_e32 v38, v70, v38                                // 0000000041B4: 024C4D46
	v_add_f32_e32 v38, v71, v38                                // 0000000041B8: 024C4D47
	v_add_f32_e32 v38, v72, v38                                // 0000000041BC: 024C4D48
	v_add_f32_e32 v38, v73, v38                                // 0000000041C0: 024C4D49
	v_mfma_f32_32x32x8_bf16 v[80:95], v[196:197], v[164:165], v[80:95]// 0000000041C4: D3E00050 054349C4
	v_add_f32_e32 v38, v74, v38                                // 0000000041CC: 024C4D4A
	v_add_f32_e32 v38, v75, v38                                // 0000000041D0: 024C4D4B
	v_add_f32_e32 v38, v76, v38                                // 0000000041D4: 024C4D4C
	v_add_f32_e32 v38, v77, v38                                // 0000000041D8: 024C4D4D
	v_add_f32_e32 v38, v78, v38                                // 0000000041DC: 024C4D4E
	v_add_f32_e32 v38, v79, v38                                // 0000000041E0: 024C4D4F
	v_add_f32_e32 v22, v38, v22                                // 0000000041E4: 022C2D26
	v_mfma_f32_32x32x8_bf16 v[80:95], v[198:199], v[166:167], v[80:95]// 0000000041E8: D3E00050 05434DC6
	v_mul_f32_e32 v96, v20, v96                                // 0000000041F0: 0AC0C114
	v_mul_f32_e32 v97, v20, v97                                // 0000000041F4: 0AC2C314
	v_mul_f32_e32 v98, v20, v98                                // 0000000041F8: 0AC4C514
	v_mul_f32_e32 v99, v20, v99                                // 0000000041FC: 0AC6C714
	v_mul_f32_e32 v100, v20, v100                              // 000000004200: 0AC8C914
	v_mul_f32_e32 v101, v20, v101                              // 000000004204: 0ACACB14
	v_mul_f32_e32 v102, v20, v102                              // 000000004208: 0ACCCD14
	v_mfma_f32_32x32x8_bf16 v[80:95], v[200:201], v[168:169], v[80:95]// 00000000420C: D3E00050 054351C8
	v_mul_f32_e32 v103, v20, v103                              // 000000004214: 0ACECF14
	v_mul_f32_e32 v104, v20, v104                              // 000000004218: 0AD0D114
	v_mul_f32_e32 v105, v20, v105                              // 00000000421C: 0AD2D314
	v_mul_f32_e32 v106, v20, v106                              // 000000004220: 0AD4D514
	v_mul_f32_e32 v107, v20, v107                              // 000000004224: 0AD6D714
	v_mul_f32_e32 v108, v20, v108                              // 000000004228: 0AD8D914
	v_mul_f32_e32 v109, v20, v109                              // 00000000422C: 0ADADB14
	v_mfma_f32_32x32x8_bf16 v[80:95], v[202:203], v[170:171], v[80:95]// 000000004230: D3E00050 054355CA
	v_mul_f32_e32 v110, v20, v110                              // 000000004238: 0ADCDD14
	v_mul_f32_e32 v111, v20, v111                              // 00000000423C: 0ADEDF14
	v_mul_f32_e32 v112, v20, v112                              // 000000004240: 0AE0E114
	v_mul_f32_e32 v113, v20, v113                              // 000000004244: 0AE2E314
	v_mul_f32_e32 v114, v20, v114                              // 000000004248: 0AE4E514
	v_mul_f32_e32 v115, v20, v115                              // 00000000424C: 0AE6E714
	v_mul_f32_e32 v116, v20, v116                              // 000000004250: 0AE8E914
	v_mfma_f32_32x32x8_bf16 v[80:95], v[204:205], v[172:173], v[80:95]// 000000004254: D3E00050 054359CC
	v_mul_f32_e32 v117, v20, v117                              // 00000000425C: 0AEAEB14
	v_mul_f32_e32 v118, v20, v118                              // 000000004260: 0AECED14
	v_mul_f32_e32 v119, v20, v119                              // 000000004264: 0AEEEF14
	v_mul_f32_e32 v120, v20, v120                              // 000000004268: 0AF0F114
	v_mul_f32_e32 v121, v20, v121                              // 00000000426C: 0AF2F314
	v_mul_f32_e32 v122, v20, v122                              // 000000004270: 0AF4F514
	v_mul_f32_e32 v123, v20, v123                              // 000000004274: 0AF6F714
	v_mfma_f32_32x32x8_bf16 v[80:95], v[206:207], v[174:175], v[80:95]// 000000004278: D3E00050 05435DCE
	v_mul_f32_e32 v124, v20, v124                              // 000000004280: 0AF8F914
	v_mul_f32_e32 v125, v20, v125                              // 000000004284: 0AFAFB14
	v_mul_f32_e32 v126, v20, v126                              // 000000004288: 0AFCFD14
	v_mul_f32_e32 v127, v20, v127                              // 00000000428C: 0AFEFF14
	v_mul_f32_e32 v128, v20, v128                              // 000000004290: 0B010114
	v_mul_f32_e32 v129, v20, v129                              // 000000004294: 0B030314
	v_mul_f32_e32 v130, v20, v130                              // 000000004298: 0B050514
	v_mfma_f32_32x32x8_bf16 v[80:95], v[208:209], v[176:177], v[80:95]// 00000000429C: D3E00050 054361D0
	v_mul_f32_e32 v131, v20, v131                              // 0000000042A4: 0B070714
	v_mul_f32_e32 v132, v20, v132                              // 0000000042A8: 0B090914
	v_mul_f32_e32 v133, v20, v133                              // 0000000042AC: 0B0B0B14
	v_mul_f32_e32 v134, v20, v134                              // 0000000042B0: 0B0D0D14
	v_mul_f32_e32 v135, v20, v135                              // 0000000042B4: 0B0F0F14
	v_mul_f32_e32 v136, v20, v136                              // 0000000042B8: 0B111114
	v_mul_f32_e32 v137, v20, v137                              // 0000000042BC: 0B131314
	v_mfma_f32_32x32x8_bf16 v[80:95], v[210:211], v[178:179], v[80:95]// 0000000042C0: D3E00050 054365D2
	v_mul_f32_e32 v138, v20, v138                              // 0000000042C8: 0B151514
	v_mul_f32_e32 v139, v20, v139                              // 0000000042CC: 0B171714
	v_mul_f32_e32 v140, v20, v140                              // 0000000042D0: 0B191914
	v_mul_f32_e32 v141, v20, v141                              // 0000000042D4: 0B1B1B14
	v_mul_f32_e32 v142, v20, v142                              // 0000000042D8: 0B1D1D14
	v_mul_f32_e32 v143, v20, v143                              // 0000000042DC: 0B1F1F14
	v_mul_f32_e32 v144, v20, v144                              // 0000000042E0: 0B212114
	v_mfma_f32_32x32x8_bf16 v[80:95], v[212:213], v[180:181], v[80:95]// 0000000042E4: D3E00050 054369D4
	v_mul_f32_e32 v145, v20, v145                              // 0000000042EC: 0B232314
	v_mul_f32_e32 v146, v20, v146                              // 0000000042F0: 0B252514
	v_mul_f32_e32 v147, v20, v147                              // 0000000042F4: 0B272714
	v_mul_f32_e32 v148, v20, v148                              // 0000000042F8: 0B292914
	v_mul_f32_e32 v149, v20, v149                              // 0000000042FC: 0B2B2B14
	v_mul_f32_e32 v150, v20, v150                              // 000000004300: 0B2D2D14
	v_mul_f32_e32 v151, v20, v151                              // 000000004304: 0B2F2F14
	v_mfma_f32_32x32x8_bf16 v[80:95], v[214:215], v[182:183], v[80:95]// 000000004308: D3E00050 05436DD6
	s_waitcnt vmcnt(8)                                         // 000000004310: BF8C0F78
	s_barrier                                                  // 000000004314: BF8A0000
	v_mfma_f32_32x32x8_bf16 v[80:95], v[216:217], v[184:185], v[80:95]// 000000004318: D3E00050 054371D8
	v_mul_f32_e32 v152, v20, v152                              // 000000004320: 0B313114
	v_mul_f32_e32 v153, v20, v153                              // 000000004324: 0B333314
	v_mul_f32_e32 v154, v20, v154                              // 000000004328: 0B353514
	v_mul_f32_e32 v155, v20, v155                              // 00000000432C: 0B373714
	v_mul_f32_e32 v156, v20, v156                              // 000000004330: 0B393914
	v_mul_f32_e32 v157, v20, v157                              // 000000004334: 0B3B3B14
	v_mul_f32_e32 v158, v20, v158                              // 000000004338: 0B3D3D14
	v_mfma_f32_32x32x8_bf16 v[80:95], v[218:219], v[186:187], v[80:95]// 00000000433C: D3E00050 054375DA
	v_mul_f32_e32 v159, v20, v159                              // 000000004344: 0B3F3F14
	v_cmp_u_f32_e64 s[70:71], v64, v64                         // 000000004348: D0480046 00028140
	v_bfe_u32 v40, v64, 16, 1                                  // 000000004350: D1C80028 02052140
	v_add3_u32 v40, v64, v40, v43                              // 000000004358: D1FF0028 04AE5140
	v_cndmask_b32_e64 v16, v40, v42, s[70:71]                  // 000000004360: D1000010 011A5528
	v_lshrrev_b32_e32 v16, 16, v16                             // 000000004368: 20202090
	v_cmp_u_f32_e64 s[70:71], v65, v65                         // 00000000436C: D0480046 00028341
	v_bfe_u32 v40, v65, 16, 1                                  // 000000004374: D1C80028 02052141
	v_add3_u32 v40, v65, v40, v43                              // 00000000437C: D1FF0028 04AE5141
	v_cndmask_b32_e64 v17, v40, v42, s[70:71]                  // 000000004384: D1000011 011A5528
	v_and_or_b32 v64, v17, v41, v16                            // 00000000438C: D2010040 04425311
	v_cmp_u_f32_e64 s[70:71], v66, v66                         // 000000004394: D0480046 00028542
	v_bfe_u32 v40, v66, 16, 1                                  // 00000000439C: D1C80028 02052142
	v_add3_u32 v40, v66, v40, v43                              // 0000000043A4: D1FF0028 04AE5142
	v_cndmask_b32_e64 v16, v40, v42, s[70:71]                  // 0000000043AC: D1000010 011A5528
	v_lshrrev_b32_e32 v16, 16, v16                             // 0000000043B4: 20202090
	v_cmp_u_f32_e64 s[70:71], v67, v67                         // 0000000043B8: D0480046 00028743
	v_bfe_u32 v40, v67, 16, 1                                  // 0000000043C0: D1C80028 02052143
	v_add3_u32 v40, v67, v40, v43                              // 0000000043C8: D1FF0028 04AE5143
	v_cndmask_b32_e64 v17, v40, v42, s[70:71]                  // 0000000043D0: D1000011 011A5528
	v_and_or_b32 v65, v17, v41, v16                            // 0000000043D8: D2010041 04425311
	v_cmp_u_f32_e64 s[70:71], v68, v68                         // 0000000043E0: D0480046 00028944
	v_bfe_u32 v40, v68, 16, 1                                  // 0000000043E8: D1C80028 02052144
	v_add3_u32 v40, v68, v40, v43                              // 0000000043F0: D1FF0028 04AE5144
	v_cndmask_b32_e64 v16, v40, v42, s[70:71]                  // 0000000043F8: D1000010 011A5528
	v_lshrrev_b32_e32 v16, 16, v16                             // 000000004400: 20202090
	v_cmp_u_f32_e64 s[70:71], v69, v69                         // 000000004404: D0480046 00028B45
	v_bfe_u32 v40, v69, 16, 1                                  // 00000000440C: D1C80028 02052145
	v_add3_u32 v40, v69, v40, v43                              // 000000004414: D1FF0028 04AE5145
	v_cndmask_b32_e64 v17, v40, v42, s[70:71]                  // 00000000441C: D1000011 011A5528
	v_and_or_b32 v66, v17, v41, v16                            // 000000004424: D2010042 04425311
	v_mfma_f32_32x32x8_bf16 v[80:95], v[220:221], v[188:189], v[80:95]// 00000000442C: D3E00050 054379DC
	v_cmp_u_f32_e64 s[70:71], v70, v70                         // 000000004434: D0480046 00028D46
	v_bfe_u32 v40, v70, 16, 1                                  // 00000000443C: D1C80028 02052146
	v_add3_u32 v40, v70, v40, v43                              // 000000004444: D1FF0028 04AE5146
	v_cndmask_b32_e64 v16, v40, v42, s[70:71]                  // 00000000444C: D1000010 011A5528
	v_lshrrev_b32_e32 v16, 16, v16                             // 000000004454: 20202090
	v_cmp_u_f32_e64 s[70:71], v71, v71                         // 000000004458: D0480046 00028F47
	v_bfe_u32 v40, v71, 16, 1                                  // 000000004460: D1C80028 02052147
	v_add3_u32 v40, v71, v40, v43                              // 000000004468: D1FF0028 04AE5147
	v_cndmask_b32_e64 v17, v40, v42, s[70:71]                  // 000000004470: D1000011 011A5528
	v_and_or_b32 v67, v17, v41, v16                            // 000000004478: D2010043 04425311
	v_cmp_u_f32_e64 s[70:71], v72, v72                         // 000000004480: D0480046 00029148
	v_bfe_u32 v40, v72, 16, 1                                  // 000000004488: D1C80028 02052148
	v_add3_u32 v40, v72, v40, v43                              // 000000004490: D1FF0028 04AE5148
	v_cndmask_b32_e64 v16, v40, v42, s[70:71]                  // 000000004498: D1000010 011A5528
	v_lshrrev_b32_e32 v16, 16, v16                             // 0000000044A0: 20202090
	v_cmp_u_f32_e64 s[70:71], v73, v73                         // 0000000044A4: D0480046 00029349
	v_bfe_u32 v40, v73, 16, 1                                  // 0000000044AC: D1C80028 02052149
	v_add3_u32 v40, v73, v40, v43                              // 0000000044B4: D1FF0028 04AE5149
	v_cndmask_b32_e64 v17, v40, v42, s[70:71]                  // 0000000044BC: D1000011 011A5528
	v_and_or_b32 v68, v17, v41, v16                            // 0000000044C4: D2010044 04425311
	v_cmp_u_f32_e64 s[70:71], v74, v74                         // 0000000044CC: D0480046 0002954A
	v_bfe_u32 v40, v74, 16, 1                                  // 0000000044D4: D1C80028 0205214A
	v_add3_u32 v40, v74, v40, v43                              // 0000000044DC: D1FF0028 04AE514A
	v_cndmask_b32_e64 v16, v40, v42, s[70:71]                  // 0000000044E4: D1000010 011A5528
	v_lshrrev_b32_e32 v16, 16, v16                             // 0000000044EC: 20202090
	v_cmp_u_f32_e64 s[70:71], v75, v75                         // 0000000044F0: D0480046 0002974B
	v_bfe_u32 v40, v75, 16, 1                                  // 0000000044F8: D1C80028 0205214B
	v_add3_u32 v40, v75, v40, v43                              // 000000004500: D1FF0028 04AE514B
	v_cndmask_b32_e64 v17, v40, v42, s[70:71]                  // 000000004508: D1000011 011A5528
	v_and_or_b32 v69, v17, v41, v16                            // 000000004510: D2010045 04425311
	v_cmp_u_f32_e64 s[70:71], v76, v76                         // 000000004518: D0480046 0002994C
	v_bfe_u32 v40, v76, 16, 1                                  // 000000004520: D1C80028 0205214C
	v_add3_u32 v40, v76, v40, v43                              // 000000004528: D1FF0028 04AE514C
	v_cndmask_b32_e64 v16, v40, v42, s[70:71]                  // 000000004530: D1000010 011A5528
	v_lshrrev_b32_e32 v16, 16, v16                             // 000000004538: 20202090
	v_cmp_u_f32_e64 s[70:71], v77, v77                         // 00000000453C: D0480046 00029B4D
	v_bfe_u32 v40, v77, 16, 1                                  // 000000004544: D1C80028 0205214D
	v_add3_u32 v40, v77, v40, v43                              // 00000000454C: D1FF0028 04AE514D
	v_cndmask_b32_e64 v17, v40, v42, s[70:71]                  // 000000004554: D1000011 011A5528
	v_and_or_b32 v70, v17, v41, v16                            // 00000000455C: D2010046 04425311
	v_cmp_u_f32_e64 s[70:71], v78, v78                         // 000000004564: D0480046 00029D4E
	v_bfe_u32 v40, v78, 16, 1                                  // 00000000456C: D1C80028 0205214E
	v_add3_u32 v40, v78, v40, v43                              // 000000004574: D1FF0028 04AE514E
	v_cndmask_b32_e64 v16, v40, v42, s[70:71]                  // 00000000457C: D1000010 011A5528
	v_lshrrev_b32_e32 v16, 16, v16                             // 000000004584: 20202090
	v_cmp_u_f32_e64 s[70:71], v79, v79                         // 000000004588: D0480046 00029F4F
	v_bfe_u32 v40, v79, 16, 1                                  // 000000004590: D1C80028 0205214F
	v_add3_u32 v40, v79, v40, v43                              // 000000004598: D1FF0028 04AE514F
	v_cndmask_b32_e64 v17, v40, v42, s[70:71]                  // 0000000045A0: D1000011 011A5528
	v_and_or_b32 v71, v17, v41, v16                            // 0000000045A8: D2010047 04425311
	v_mfma_f32_32x32x8_bf16 v[80:95], v[222:223], v[190:191], v[80:95]// 0000000045B0: D3E00050 05437DDE
	v_perm_b32 v232, v225, v224, s50                           // 0000000045B8: D1ED00E8 00CBC1E1
	v_perm_b32 v234, v225, v224, s49                           // 0000000045C0: D1ED00EA 00C7C1E1
	v_perm_b32 v233, v227, v226, s50                           // 0000000045C8: D1ED00E9 00CBC5E3
	v_perm_b32 v235, v227, v226, s49                           // 0000000045D0: D1ED00EB 00C7C5E3
	s_barrier                                                  // 0000000045D8: BF8A0000
	ds_write_b64 v14, v[232:233] offset:17408                  // 0000000045DC: D89A4400 0000E80E
	ds_write_b64 v14, v[234:235] offset:21568                  // 0000000045E4: D89A5440 0000EA0E
	s_waitcnt lgkmcnt(0)                                       // 0000000045EC: BF8CC07F
	s_barrier                                                  // 0000000045F0: BF8A0000
	s_mov_b32 m0, s69                                          // 0000000045F4: BEFC0045
	ds_read_b64 v[192:193], v13 offset:17408                   // 0000000045F8: D8EC4400 C000000D
	ds_read_b64 v[194:195], v13 offset:18432                   // 000000004600: D8EC4800 C200000D
	ds_read_b64 v[196:197], v13 offset:19456                   // 000000004608: D8EC4C00 C400000D
	ds_read_b64 v[198:199], v13 offset:20480                   // 000000004610: D8EC5000 C600000D
	buffer_load_dword v4, s[12:15], s60 offen lds              // 000000004618: E0511000 3C030004
	s_add_u32 m0, 0x880, m0                                    // 000000004620: 807C7CFF 00000880
	ds_read_b64 v[200:201], v13 offset:17536                   // 000000004628: D8EC4480 C800000D
	ds_read_b64 v[202:203], v13 offset:18560                   // 000000004630: D8EC4880 CA00000D
	ds_read_b64 v[204:205], v13 offset:19584                   // 000000004638: D8EC4C80 CC00000D
	ds_read_b64 v[206:207], v13 offset:20608                   // 000000004640: D8EC5080 CE00000D
	buffer_load_dword v5, s[12:15], s60 offen lds              // 000000004648: E0511000 3C030005
	s_add_u32 m0, 0x880, m0                                    // 000000004650: 807C7CFF 00000880
	ds_read_b64 v[208:209], v13 offset:17664                   // 000000004658: D8EC4500 D000000D
	ds_read_b64 v[210:211], v13 offset:18688                   // 000000004660: D8EC4900 D200000D
	ds_read_b64 v[212:213], v13 offset:19712                   // 000000004668: D8EC4D00 D400000D
	ds_read_b64 v[214:215], v13 offset:20736                   // 000000004670: D8EC5100 D600000D
	buffer_load_dword v6, s[12:15], s60 offen lds              // 000000004678: E0511000 3C030006
	s_add_u32 m0, 0x880, m0                                    // 000000004680: 807C7CFF 00000880
	ds_read_b64 v[216:217], v13 offset:17792                   // 000000004688: D8EC4580 D800000D
	ds_read_b64 v[218:219], v13 offset:18816                   // 000000004690: D8EC4980 DA00000D
	ds_read_b64 v[220:221], v13 offset:19840                   // 000000004698: D8EC4D80 DC00000D
	ds_read_b64 v[222:223], v13 offset:20864                   // 0000000046A0: D8EC5180 DE00000D
	buffer_load_dword v7, s[12:15], s60 offen lds              // 0000000046A8: E0511000 3C030007
	s_add_u32 m0, 0x880, m0                                    // 0000000046B0: 807C7CFF 00000880
	s_add_i32 s60, s43, s60                                    // 0000000046B8: 813C3C2B
	s_add_u32 s40, 0x80, s39                                   // 0000000046BC: 802827FF 00000080
	s_cmp_lt_u32 s40, s38                                      // 0000000046C4: BF0A2628
	s_cselect_b32 s43, s43, 0                                  // 0000000046C8: 852B802B
	s_nop 0                                                    // 0000000046CC: BF800000
	s_cmp_lt_i32 s52, s54                                      // 0000000046D0: BF043634
	s_cbranch_scc1 label_0539                                  // 0000000046D4: BF850043
	s_sub_i32 s40, s7, s52                                     // 0000000046D8: 81A83407
	v_sub_i32 v16, s40, v30                                    // 0000000046DC: D29D0010 00023C28
	v_cmp_lt_i32_e64 s[72:73], 0, v16                          // 0000000046E4: D0C10048 00022080
	v_cmp_lt_i32_e64 s[74:75], 1, v16                          // 0000000046EC: D0C1004A 00022081
	v_cndmask_b32_e64 v80, v31, v80, s[72:73]                  // 0000000046F4: D1000050 0122A11F
	v_cndmask_b32_e64 v81, v31, v81, s[74:75]                  // 0000000046FC: D1000051 012AA31F
	v_cmp_lt_i32_e64 s[72:73], 2, v16                          // 000000004704: D0C10048 00022082
	v_cmp_lt_i32_e64 s[74:75], 3, v16                          // 00000000470C: D0C1004A 00022083
	v_cndmask_b32_e64 v82, v31, v82, s[72:73]                  // 000000004714: D1000052 0122A51F
	v_cndmask_b32_e64 v83, v31, v83, s[74:75]                  // 00000000471C: D1000053 012AA71F
	v_cmp_lt_i32_e64 s[72:73], 8, v16                          // 000000004724: D0C10048 00022088
	v_cmp_lt_i32_e64 s[74:75], 9, v16                          // 00000000472C: D0C1004A 00022089
	v_cndmask_b32_e64 v84, v31, v84, s[72:73]                  // 000000004734: D1000054 0122A91F
	v_cndmask_b32_e64 v85, v31, v85, s[74:75]                  // 00000000473C: D1000055 012AAB1F
	v_cmp_lt_i32_e64 s[72:73], 10, v16                         // 000000004744: D0C10048 0002208A
	v_cmp_lt_i32_e64 s[74:75], 11, v16                         // 00000000474C: D0C1004A 0002208B
	v_cndmask_b32_e64 v86, v31, v86, s[72:73]                  // 000000004754: D1000056 0122AD1F
	v_cndmask_b32_e64 v87, v31, v87, s[74:75]                  // 00000000475C: D1000057 012AAF1F
	v_cmp_lt_i32_e64 s[72:73], 16, v16                         // 000000004764: D0C10048 00022090
	v_cmp_lt_i32_e64 s[74:75], 17, v16                         // 00000000476C: D0C1004A 00022091
	v_cndmask_b32_e64 v88, v31, v88, s[72:73]                  // 000000004774: D1000058 0122B11F
	v_cndmask_b32_e64 v89, v31, v89, s[74:75]                  // 00000000477C: D1000059 012AB31F
	v_cmp_lt_i32_e64 s[72:73], 18, v16                         // 000000004784: D0C10048 00022092
	v_cmp_lt_i32_e64 s[74:75], 19, v16                         // 00000000478C: D0C1004A 00022093
	v_cndmask_b32_e64 v90, v31, v90, s[72:73]                  // 000000004794: D100005A 0122B51F
	v_cndmask_b32_e64 v91, v31, v91, s[74:75]                  // 00000000479C: D100005B 012AB71F
	v_cmp_lt_i32_e64 s[72:73], 24, v16                         // 0000000047A4: D0C10048 00022098
	v_cmp_lt_i32_e64 s[74:75], 25, v16                         // 0000000047AC: D0C1004A 00022099
	v_cndmask_b32_e64 v92, v31, v92, s[72:73]                  // 0000000047B4: D100005C 0122B91F
	v_cndmask_b32_e64 v93, v31, v93, s[74:75]                  // 0000000047BC: D100005D 012ABB1F
	v_cmp_lt_i32_e64 s[72:73], 26, v16                         // 0000000047C4: D0C10048 0002209A
	v_cmp_lt_i32_e64 s[74:75], 27, v16                         // 0000000047CC: D0C1004A 0002209B
	v_cndmask_b32_e64 v94, v31, v94, s[72:73]                  // 0000000047D4: D100005E 0122BD1F
	v_cndmask_b32_e64 v95, v31, v95, s[74:75]                  // 0000000047DC: D100005F 012ABF1F

00000000000047e4 <label_0539>:
	s_nop 0                                                    // 0000000047E4: BF800000
	s_waitcnt lgkmcnt(0)                                       // 0000000047E8: BF8CC07F
	s_barrier                                                  // 0000000047EC: BF8A0000
	v_mfma_f32_32x32x8_bf16 v[96:111], v[192:193], v[64:65], v[96:111]// 0000000047F0: D3E00060 058281C0
	v_max3_f32 v25, v80, v81, v28                              // 0000000047F8: D1D30019 0472A350
	v_max3_f32 v25, v82, v83, v25                              // 000000004800: D1D30019 0466A752
	v_max3_f32 v25, v84, v85, v25                              // 000000004808: D1D30019 0466AB54
	v_max3_f32 v25, v86, v87, v25                              // 000000004810: D1D30019 0466AF56
	v_max3_f32 v25, v88, v89, v25                              // 000000004818: D1D30019 0466B358
	v_max3_f32 v25, v90, v91, v25                              // 000000004820: D1D30019 0466B75A
	v_max3_f32 v25, v92, v93, v25                              // 000000004828: D1D30019 0466BB5C
	v_mfma_f32_32x32x8_bf16 v[96:111], v[194:195], v[66:67], v[96:111]// 000000004830: D3E00060 058285C2
	v_max3_f32 v25, v94, v95, v25                              // 000000004838: D1D30019 0466BF5E
	ds_permute_b32 v24, v32, v25                               // 000000004840: D87C0000 18001920
	v_mfma_f32_32x32x8_bf16 v[96:111], v[196:197], v[68:69], v[96:111]// 000000004848: D3E00060 058289C4
	v_nop                                                      // 000000004850: 7E000000
	s_nop 0                                                    // 000000004854: BF800000
	v_mfma_f32_32x32x8_bf16 v[96:111], v[198:199], v[70:71], v[96:111]// 000000004858: D3E00060 05828DC6
	v_nop                                                      // 000000004860: 7E000000
	v_mfma_f32_32x32x8_bf16 v[112:127], v[200:201], v[64:65], v[112:127]// 000000004864: D3E00070 05C281C8
	s_waitcnt lgkmcnt(0)                                       // 00000000486C: BF8CC07F
	v_max_f32_e32 v25, v24, v25                                // 000000004870: 16323318
	v_sub_f32_e32 v20, v28, v25                                // 000000004874: 0428331C
	v_mov_b32_e32 v28, v25                                     // 000000004878: 7E380319
	v_mul_f32_e32 v27, s56, v25                                // 00000000487C: 0A363238
	v_mul_f32_e32 v20, s56, v20                                // 000000004880: 0A282838
	v_mfma_f32_32x32x8_bf16 v[112:127], v[202:203], v[66:67], v[112:127]// 000000004884: D3E00070 05C285CA
	v_exp_f32_e32 v20, v20                                     // 00000000488C: 7E284114
	v_fma_f32 v80, v80, s56, -v27                              // 000000004890: D1CB0050 846C7150
	v_fma_f32 v81, v81, s56, -v27                              // 000000004898: D1CB0051 846C7151
	v_fma_f32 v82, v82, s56, -v27                              // 0000000048A0: D1CB0052 846C7152
	v_mfma_f32_32x32x8_bf16 v[112:127], v[204:205], v[68:69], v[112:127]// 0000000048A8: D3E00070 05C289CC
	v_fma_f32 v83, v83, s56, -v27                              // 0000000048B0: D1CB0053 846C7153
	v_fma_f32 v84, v84, s56, -v27                              // 0000000048B8: D1CB0054 846C7154
	v_fma_f32 v85, v85, s56, -v27                              // 0000000048C0: D1CB0055 846C7155
	v_fma_f32 v86, v86, s56, -v27                              // 0000000048C8: D1CB0056 846C7156
	v_fma_f32 v87, v87, s56, -v27                              // 0000000048D0: D1CB0057 846C7157
	v_fma_f32 v88, v88, s56, -v27                              // 0000000048D8: D1CB0058 846C7158
	v_fma_f32 v89, v89, s56, -v27                              // 0000000048E0: D1CB0059 846C7159
	v_mfma_f32_32x32x8_bf16 v[112:127], v[206:207], v[70:71], v[112:127]// 0000000048E8: D3E00070 05C28DCE
	v_fma_f32 v90, v90, s56, -v27                              // 0000000048F0: D1CB005A 846C715A
	v_fma_f32 v91, v91, s56, -v27                              // 0000000048F8: D1CB005B 846C715B
	v_fma_f32 v92, v92, s56, -v27                              // 000000004900: D1CB005C 846C715C
	v_fma_f32 v93, v93, s56, -v27                              // 000000004908: D1CB005D 846C715D
	v_fma_f32 v94, v94, s56, -v27                              // 000000004910: D1CB005E 846C715E
	v_fma_f32 v95, v95, s56, -v27                              // 000000004918: D1CB005F 846C715F
	v_exp_f32_e32 v80, v80                                     // 000000004920: 7EA04150
	v_mfma_f32_32x32x8_bf16 v[128:143], v[208:209], v[64:65], v[128:143]// 000000004924: D3E00080 060281D0
	v_exp_f32_e32 v81, v81                                     // 00000000492C: 7EA24151
	v_exp_f32_e32 v82, v82                                     // 000000004930: 7EA44152
	v_mfma_f32_32x32x8_bf16 v[128:143], v[210:211], v[66:67], v[128:143]// 000000004934: D3E00080 060285D2
	v_exp_f32_e32 v83, v83                                     // 00000000493C: 7EA64153
	v_exp_f32_e32 v84, v84                                     // 000000004940: 7EA84154
	v_mfma_f32_32x32x8_bf16 v[128:143], v[212:213], v[68:69], v[128:143]// 000000004944: D3E00080 060289D4
	v_exp_f32_e32 v85, v85                                     // 00000000494C: 7EAA4155
	v_exp_f32_e32 v86, v86                                     // 000000004950: 7EAC4156
	v_mfma_f32_32x32x8_bf16 v[128:143], v[214:215], v[70:71], v[128:143]// 000000004954: D3E00080 06028DD6
	v_exp_f32_e32 v87, v87                                     // 00000000495C: 7EAE4157
	v_exp_f32_e32 v88, v88                                     // 000000004960: 7EB04158
	v_mfma_f32_32x32x8_bf16 v[144:159], v[216:217], v[64:65], v[144:159]// 000000004964: D3E00090 064281D8
	v_exp_f32_e32 v89, v89                                     // 00000000496C: 7EB24159
	v_exp_f32_e32 v90, v90                                     // 000000004970: 7EB4415A
	v_mfma_f32_32x32x8_bf16 v[144:159], v[218:219], v[66:67], v[144:159]// 000000004974: D3E00090 064285DA
	v_exp_f32_e32 v91, v91                                     // 00000000497C: 7EB6415B
	v_exp_f32_e32 v92, v92                                     // 000000004980: 7EB8415C
	v_mfma_f32_32x32x8_bf16 v[144:159], v[220:221], v[68:69], v[144:159]// 000000004984: D3E00090 064289DC
	v_exp_f32_e32 v93, v93                                     // 00000000498C: 7EBA415D
	v_exp_f32_e32 v94, v94                                     // 000000004990: 7EBC415E
	v_mfma_f32_32x32x8_bf16 v[144:159], v[222:223], v[70:71], v[144:159]// 000000004994: D3E00090 06428DDE
	s_waitcnt vmcnt(8)                                         // 00000000499C: BF8C0F78
	s_barrier                                                  // 0000000049A0: BF8A0000
	s_nop 11                                                   // 0000000049A4: BF80000B
	s_nop 11                                                   // 0000000049A8: BF80000B
	ds_read_b128 v[192:195], v12                               // 0000000049AC: D9FE0000 C000000C
	ds_read_b128 v[196:199], v12 offset:32                     // 0000000049B4: D9FE0020 C400000C
	ds_read_b128 v[200:203], v12 offset:64                     // 0000000049BC: D9FE0040 C800000C
	ds_read_b128 v[204:207], v12 offset:96                     // 0000000049C4: D9FE0060 CC00000C
	s_nop 15                                                   // 0000000049CC: BF80000F
	s_nop 15                                                   // 0000000049D0: BF80000F
	s_nop 10                                                   // 0000000049D4: BF80000A
	buffer_load_dword v224, v8, s[16:19], s35 offen            // 0000000049D8: E0501000 2304E008
	ds_read_b128 v[208:211], v12 offset:128                    // 0000000049E0: D9FE0080 D000000C
	ds_read_b128 v[212:215], v12 offset:160                    // 0000000049E8: D9FE00A0 D400000C
	buffer_load_dword v225, v9, s[16:19], s35 offen            // 0000000049F0: E0501000 2304E109
	ds_read_b128 v[216:219], v12 offset:192                    // 0000000049F8: D9FE00C0 D800000C
	ds_read_b128 v[220:223], v12 offset:224                    // 000000004A00: D9FE00E0 DC00000C
	buffer_load_dword v226, v10, s[16:19], s35 offen           // 000000004A08: E0501000 2304E20A
	buffer_load_dword v227, v11, s[16:19], s35 offen           // 000000004A10: E0501000 2304E30B
	s_add_i32 s35, s44, s35                                    // 000000004A18: 8123232C
	s_add_u32 s40, 0x60, s39                                   // 000000004A1C: 802827FF 00000060
	s_nop 0                                                    // 000000004A24: BF800000
	s_cmp_lt_u32 s40, s38                                      // 000000004A28: BF0A2628
	s_cselect_b32 s44, s44, 0                                  // 000000004A2C: 852C802C
	s_add_i32 s52, s52, s53                                    // 000000004A30: 81343534
	s_addk_i32 s39, 0x20                                       // 000000004A34: B7270020
	s_cmp_lt_i32 s39, s38                                      // 000000004A38: BF042627
	s_nop 0                                                    // 000000004A3C: BF800000
	s_cbranch_scc0 label_0C5E                                  // 000000004A40: BF84068D
	s_waitcnt lgkmcnt(0)                                       // 000000004A44: BF8CC07F
	v_mfma_f32_32x32x8_bf16 v[64:79], v[192:193], v[160:161], 0// 000000004A48: D3E00040 020341C0
	v_exp_f32_e32 v95, v95                                     // 000000004A50: 7EBE415F
	v_mul_f32_e32 v22, v20, v22                                // 000000004A54: 0A2C2D14
	v_add_f32_e32 v38, v81, v80                                // 000000004A58: 024CA151
	v_add_f32_e32 v38, v82, v38                                // 000000004A5C: 024C4D52
	v_mfma_f32_32x32x8_bf16 v[64:79], v[194:195], v[162:163], v[64:79]// 000000004A60: D3E00040 050345C2
	v_add_f32_e32 v38, v83, v38                                // 000000004A68: 024C4D53
	v_add_f32_e32 v38, v84, v38                                // 000000004A6C: 024C4D54
	v_add_f32_e32 v38, v85, v38                                // 000000004A70: 024C4D55
	v_add_f32_e32 v38, v86, v38                                // 000000004A74: 024C4D56
	v_add_f32_e32 v38, v87, v38                                // 000000004A78: 024C4D57
	v_add_f32_e32 v38, v88, v38                                // 000000004A7C: 024C4D58
	v_add_f32_e32 v38, v89, v38                                // 000000004A80: 024C4D59
	v_mfma_f32_32x32x8_bf16 v[64:79], v[196:197], v[164:165], v[64:79]// 000000004A84: D3E00040 050349C4
	v_add_f32_e32 v38, v90, v38                                // 000000004A8C: 024C4D5A
	v_add_f32_e32 v38, v91, v38                                // 000000004A90: 024C4D5B
	v_add_f32_e32 v38, v92, v38                                // 000000004A94: 024C4D5C
	v_add_f32_e32 v38, v93, v38                                // 000000004A98: 024C4D5D
	v_add_f32_e32 v38, v94, v38                                // 000000004A9C: 024C4D5E
	v_add_f32_e32 v38, v95, v38                                // 000000004AA0: 024C4D5F
	v_add_f32_e32 v22, v38, v22                                // 000000004AA4: 022C2D26
	v_mfma_f32_32x32x8_bf16 v[64:79], v[198:199], v[166:167], v[64:79]// 000000004AA8: D3E00040 05034DC6
	v_mul_f32_e32 v96, v20, v96                                // 000000004AB0: 0AC0C114
	v_mul_f32_e32 v97, v20, v97                                // 000000004AB4: 0AC2C314
	v_mul_f32_e32 v98, v20, v98                                // 000000004AB8: 0AC4C514
	v_mul_f32_e32 v99, v20, v99                                // 000000004ABC: 0AC6C714
	v_mul_f32_e32 v100, v20, v100                              // 000000004AC0: 0AC8C914
	v_mul_f32_e32 v101, v20, v101                              // 000000004AC4: 0ACACB14
	v_mul_f32_e32 v102, v20, v102                              // 000000004AC8: 0ACCCD14
	v_mfma_f32_32x32x8_bf16 v[64:79], v[200:201], v[168:169], v[64:79]// 000000004ACC: D3E00040 050351C8
	v_mul_f32_e32 v103, v20, v103                              // 000000004AD4: 0ACECF14
	v_mul_f32_e32 v104, v20, v104                              // 000000004AD8: 0AD0D114
	v_mul_f32_e32 v105, v20, v105                              // 000000004ADC: 0AD2D314
	v_mul_f32_e32 v106, v20, v106                              // 000000004AE0: 0AD4D514
	v_mul_f32_e32 v107, v20, v107                              // 000000004AE4: 0AD6D714
	v_mul_f32_e32 v108, v20, v108                              // 000000004AE8: 0AD8D914
	v_mul_f32_e32 v109, v20, v109                              // 000000004AEC: 0ADADB14
	v_mfma_f32_32x32x8_bf16 v[64:79], v[202:203], v[170:171], v[64:79]// 000000004AF0: D3E00040 050355CA
	v_mul_f32_e32 v110, v20, v110                              // 000000004AF8: 0ADCDD14
	v_mul_f32_e32 v111, v20, v111                              // 000000004AFC: 0ADEDF14
	v_mul_f32_e32 v112, v20, v112                              // 000000004B00: 0AE0E114
	v_mul_f32_e32 v113, v20, v113                              // 000000004B04: 0AE2E314
	v_mul_f32_e32 v114, v20, v114                              // 000000004B08: 0AE4E514
	v_mul_f32_e32 v115, v20, v115                              // 000000004B0C: 0AE6E714
	v_mul_f32_e32 v116, v20, v116                              // 000000004B10: 0AE8E914
	v_mfma_f32_32x32x8_bf16 v[64:79], v[204:205], v[172:173], v[64:79]// 000000004B14: D3E00040 050359CC
	v_mul_f32_e32 v117, v20, v117                              // 000000004B1C: 0AEAEB14
	v_mul_f32_e32 v118, v20, v118                              // 000000004B20: 0AECED14
	v_mul_f32_e32 v119, v20, v119                              // 000000004B24: 0AEEEF14
	v_mul_f32_e32 v120, v20, v120                              // 000000004B28: 0AF0F114
	v_mul_f32_e32 v121, v20, v121                              // 000000004B2C: 0AF2F314
	v_mul_f32_e32 v122, v20, v122                              // 000000004B30: 0AF4F514
	v_mul_f32_e32 v123, v20, v123                              // 000000004B34: 0AF6F714
	v_mfma_f32_32x32x8_bf16 v[64:79], v[206:207], v[174:175], v[64:79]// 000000004B38: D3E00040 05035DCE
	v_mul_f32_e32 v124, v20, v124                              // 000000004B40: 0AF8F914
	v_mul_f32_e32 v125, v20, v125                              // 000000004B44: 0AFAFB14
	v_mul_f32_e32 v126, v20, v126                              // 000000004B48: 0AFCFD14
	v_mul_f32_e32 v127, v20, v127                              // 000000004B4C: 0AFEFF14
	v_mul_f32_e32 v128, v20, v128                              // 000000004B50: 0B010114
	v_mul_f32_e32 v129, v20, v129                              // 000000004B54: 0B030314
	v_mul_f32_e32 v130, v20, v130                              // 000000004B58: 0B050514
	v_mfma_f32_32x32x8_bf16 v[64:79], v[208:209], v[176:177], v[64:79]// 000000004B5C: D3E00040 050361D0
	v_mul_f32_e32 v131, v20, v131                              // 000000004B64: 0B070714
	v_mul_f32_e32 v132, v20, v132                              // 000000004B68: 0B090914
	v_mul_f32_e32 v133, v20, v133                              // 000000004B6C: 0B0B0B14
	v_mul_f32_e32 v134, v20, v134                              // 000000004B70: 0B0D0D14
	v_mul_f32_e32 v135, v20, v135                              // 000000004B74: 0B0F0F14
	v_mul_f32_e32 v136, v20, v136                              // 000000004B78: 0B111114
	v_mul_f32_e32 v137, v20, v137                              // 000000004B7C: 0B131314
	v_mfma_f32_32x32x8_bf16 v[64:79], v[210:211], v[178:179], v[64:79]// 000000004B80: D3E00040 050365D2
	v_mul_f32_e32 v138, v20, v138                              // 000000004B88: 0B151514
	v_mul_f32_e32 v139, v20, v139                              // 000000004B8C: 0B171714
	v_mul_f32_e32 v140, v20, v140                              // 000000004B90: 0B191914
	v_mul_f32_e32 v141, v20, v141                              // 000000004B94: 0B1B1B14
	v_mul_f32_e32 v142, v20, v142                              // 000000004B98: 0B1D1D14
	v_mul_f32_e32 v143, v20, v143                              // 000000004B9C: 0B1F1F14
	v_mul_f32_e32 v144, v20, v144                              // 000000004BA0: 0B212114
	v_mfma_f32_32x32x8_bf16 v[64:79], v[212:213], v[180:181], v[64:79]// 000000004BA4: D3E00040 050369D4
	v_mul_f32_e32 v145, v20, v145                              // 000000004BAC: 0B232314
	v_mul_f32_e32 v146, v20, v146                              // 000000004BB0: 0B252514
	v_mul_f32_e32 v147, v20, v147                              // 000000004BB4: 0B272714
	v_mul_f32_e32 v148, v20, v148                              // 000000004BB8: 0B292914
	v_mul_f32_e32 v149, v20, v149                              // 000000004BBC: 0B2B2B14
	v_mul_f32_e32 v150, v20, v150                              // 000000004BC0: 0B2D2D14
	v_mul_f32_e32 v151, v20, v151                              // 000000004BC4: 0B2F2F14
	v_mfma_f32_32x32x8_bf16 v[64:79], v[214:215], v[182:183], v[64:79]// 000000004BC8: D3E00040 05036DD6
	s_waitcnt vmcnt(8)                                         // 000000004BD0: BF8C0F78
	s_barrier                                                  // 000000004BD4: BF8A0000
	v_mfma_f32_32x32x8_bf16 v[64:79], v[216:217], v[184:185], v[64:79]// 000000004BD8: D3E00040 050371D8
	v_mul_f32_e32 v152, v20, v152                              // 000000004BE0: 0B313114
	v_mul_f32_e32 v153, v20, v153                              // 000000004BE4: 0B333314
	v_mul_f32_e32 v154, v20, v154                              // 000000004BE8: 0B353514
	v_mul_f32_e32 v155, v20, v155                              // 000000004BEC: 0B373714
	v_mul_f32_e32 v156, v20, v156                              // 000000004BF0: 0B393914
	v_mul_f32_e32 v157, v20, v157                              // 000000004BF4: 0B3B3B14
	v_mul_f32_e32 v158, v20, v158                              // 000000004BF8: 0B3D3D14
	v_mfma_f32_32x32x8_bf16 v[64:79], v[218:219], v[186:187], v[64:79]// 000000004BFC: D3E00040 050375DA
	v_mul_f32_e32 v159, v20, v159                              // 000000004C04: 0B3F3F14
	v_cmp_u_f32_e64 s[70:71], v80, v80                         // 000000004C08: D0480046 0002A150
	v_bfe_u32 v40, v80, 16, 1                                  // 000000004C10: D1C80028 02052150
	v_add3_u32 v40, v80, v40, v43                              // 000000004C18: D1FF0028 04AE5150
	v_cndmask_b32_e64 v16, v40, v42, s[70:71]                  // 000000004C20: D1000010 011A5528
	v_lshrrev_b32_e32 v16, 16, v16                             // 000000004C28: 20202090
	v_cmp_u_f32_e64 s[70:71], v81, v81                         // 000000004C2C: D0480046 0002A351
	v_bfe_u32 v40, v81, 16, 1                                  // 000000004C34: D1C80028 02052151
	v_add3_u32 v40, v81, v40, v43                              // 000000004C3C: D1FF0028 04AE5151
	v_cndmask_b32_e64 v17, v40, v42, s[70:71]                  // 000000004C44: D1000011 011A5528
	v_and_or_b32 v80, v17, v41, v16                            // 000000004C4C: D2010050 04425311
	v_cmp_u_f32_e64 s[70:71], v82, v82                         // 000000004C54: D0480046 0002A552
	v_bfe_u32 v40, v82, 16, 1                                  // 000000004C5C: D1C80028 02052152
	v_add3_u32 v40, v82, v40, v43                              // 000000004C64: D1FF0028 04AE5152
	v_cndmask_b32_e64 v16, v40, v42, s[70:71]                  // 000000004C6C: D1000010 011A5528
	v_lshrrev_b32_e32 v16, 16, v16                             // 000000004C74: 20202090
	v_cmp_u_f32_e64 s[70:71], v83, v83                         // 000000004C78: D0480046 0002A753
	v_bfe_u32 v40, v83, 16, 1                                  // 000000004C80: D1C80028 02052153
	v_add3_u32 v40, v83, v40, v43                              // 000000004C88: D1FF0028 04AE5153
	v_cndmask_b32_e64 v17, v40, v42, s[70:71]                  // 000000004C90: D1000011 011A5528
	v_and_or_b32 v81, v17, v41, v16                            // 000000004C98: D2010051 04425311
	v_cmp_u_f32_e64 s[70:71], v84, v84                         // 000000004CA0: D0480046 0002A954
	v_bfe_u32 v40, v84, 16, 1                                  // 000000004CA8: D1C80028 02052154
	v_add3_u32 v40, v84, v40, v43                              // 000000004CB0: D1FF0028 04AE5154
	v_cndmask_b32_e64 v16, v40, v42, s[70:71]                  // 000000004CB8: D1000010 011A5528
	v_lshrrev_b32_e32 v16, 16, v16                             // 000000004CC0: 20202090
	v_cmp_u_f32_e64 s[70:71], v85, v85                         // 000000004CC4: D0480046 0002AB55
	v_bfe_u32 v40, v85, 16, 1                                  // 000000004CCC: D1C80028 02052155
	v_add3_u32 v40, v85, v40, v43                              // 000000004CD4: D1FF0028 04AE5155
	v_cndmask_b32_e64 v17, v40, v42, s[70:71]                  // 000000004CDC: D1000011 011A5528
	v_and_or_b32 v82, v17, v41, v16                            // 000000004CE4: D2010052 04425311
	v_mfma_f32_32x32x8_bf16 v[64:79], v[220:221], v[188:189], v[64:79]// 000000004CEC: D3E00040 050379DC
	v_cmp_u_f32_e64 s[70:71], v86, v86                         // 000000004CF4: D0480046 0002AD56
	v_bfe_u32 v40, v86, 16, 1                                  // 000000004CFC: D1C80028 02052156
	v_add3_u32 v40, v86, v40, v43                              // 000000004D04: D1FF0028 04AE5156
	v_cndmask_b32_e64 v16, v40, v42, s[70:71]                  // 000000004D0C: D1000010 011A5528
	v_lshrrev_b32_e32 v16, 16, v16                             // 000000004D14: 20202090
	v_cmp_u_f32_e64 s[70:71], v87, v87                         // 000000004D18: D0480046 0002AF57
	v_bfe_u32 v40, v87, 16, 1                                  // 000000004D20: D1C80028 02052157
	v_add3_u32 v40, v87, v40, v43                              // 000000004D28: D1FF0028 04AE5157
	v_cndmask_b32_e64 v17, v40, v42, s[70:71]                  // 000000004D30: D1000011 011A5528
	v_and_or_b32 v83, v17, v41, v16                            // 000000004D38: D2010053 04425311
	v_cmp_u_f32_e64 s[70:71], v88, v88                         // 000000004D40: D0480046 0002B158
	v_bfe_u32 v40, v88, 16, 1                                  // 000000004D48: D1C80028 02052158
	v_add3_u32 v40, v88, v40, v43                              // 000000004D50: D1FF0028 04AE5158
	v_cndmask_b32_e64 v16, v40, v42, s[70:71]                  // 000000004D58: D1000010 011A5528
	v_lshrrev_b32_e32 v16, 16, v16                             // 000000004D60: 20202090
	v_cmp_u_f32_e64 s[70:71], v89, v89                         // 000000004D64: D0480046 0002B359
	v_bfe_u32 v40, v89, 16, 1                                  // 000000004D6C: D1C80028 02052159
	v_add3_u32 v40, v89, v40, v43                              // 000000004D74: D1FF0028 04AE5159
	v_cndmask_b32_e64 v17, v40, v42, s[70:71]                  // 000000004D7C: D1000011 011A5528
	v_and_or_b32 v84, v17, v41, v16                            // 000000004D84: D2010054 04425311
	v_cmp_u_f32_e64 s[70:71], v90, v90                         // 000000004D8C: D0480046 0002B55A
	v_bfe_u32 v40, v90, 16, 1                                  // 000000004D94: D1C80028 0205215A
	v_add3_u32 v40, v90, v40, v43                              // 000000004D9C: D1FF0028 04AE515A
	v_cndmask_b32_e64 v16, v40, v42, s[70:71]                  // 000000004DA4: D1000010 011A5528
	v_lshrrev_b32_e32 v16, 16, v16                             // 000000004DAC: 20202090
	v_cmp_u_f32_e64 s[70:71], v91, v91                         // 000000004DB0: D0480046 0002B75B
	v_bfe_u32 v40, v91, 16, 1                                  // 000000004DB8: D1C80028 0205215B
	v_add3_u32 v40, v91, v40, v43                              // 000000004DC0: D1FF0028 04AE515B
	v_cndmask_b32_e64 v17, v40, v42, s[70:71]                  // 000000004DC8: D1000011 011A5528
	v_and_or_b32 v85, v17, v41, v16                            // 000000004DD0: D2010055 04425311
	v_cmp_u_f32_e64 s[70:71], v92, v92                         // 000000004DD8: D0480046 0002B95C
	v_bfe_u32 v40, v92, 16, 1                                  // 000000004DE0: D1C80028 0205215C
	v_add3_u32 v40, v92, v40, v43                              // 000000004DE8: D1FF0028 04AE515C
	v_cndmask_b32_e64 v16, v40, v42, s[70:71]                  // 000000004DF0: D1000010 011A5528
	v_lshrrev_b32_e32 v16, 16, v16                             // 000000004DF8: 20202090
	v_cmp_u_f32_e64 s[70:71], v93, v93                         // 000000004DFC: D0480046 0002BB5D
	v_bfe_u32 v40, v93, 16, 1                                  // 000000004E04: D1C80028 0205215D
	v_add3_u32 v40, v93, v40, v43                              // 000000004E0C: D1FF0028 04AE515D
	v_cndmask_b32_e64 v17, v40, v42, s[70:71]                  // 000000004E14: D1000011 011A5528
	v_and_or_b32 v86, v17, v41, v16                            // 000000004E1C: D2010056 04425311
	v_cmp_u_f32_e64 s[70:71], v94, v94                         // 000000004E24: D0480046 0002BD5E
	v_bfe_u32 v40, v94, 16, 1                                  // 000000004E2C: D1C80028 0205215E
	v_add3_u32 v40, v94, v40, v43                              // 000000004E34: D1FF0028 04AE515E
	v_cndmask_b32_e64 v16, v40, v42, s[70:71]                  // 000000004E3C: D1000010 011A5528
	v_lshrrev_b32_e32 v16, 16, v16                             // 000000004E44: 20202090
	v_cmp_u_f32_e64 s[70:71], v95, v95                         // 000000004E48: D0480046 0002BF5F
	v_bfe_u32 v40, v95, 16, 1                                  // 000000004E50: D1C80028 0205215F
	v_add3_u32 v40, v95, v40, v43                              // 000000004E58: D1FF0028 04AE515F
	v_cndmask_b32_e64 v17, v40, v42, s[70:71]                  // 000000004E60: D1000011 011A5528
	v_and_or_b32 v87, v17, v41, v16                            // 000000004E68: D2010057 04425311
	v_mfma_f32_32x32x8_bf16 v[64:79], v[222:223], v[190:191], v[64:79]// 000000004E70: D3E00040 05037DDE
	v_perm_b32 v232, v229, v228, s50                           // 000000004E78: D1ED00E8 00CBC9E5
	v_perm_b32 v234, v229, v228, s49                           // 000000004E80: D1ED00EA 00C7C9E5
	v_perm_b32 v233, v231, v230, s50                           // 000000004E88: D1ED00E9 00CBCDE7
	v_perm_b32 v235, v231, v230, s49                           // 000000004E90: D1ED00EB 00C7CDE7
	s_barrier                                                  // 000000004E98: BF8A0000
	ds_write_b64 v14, v[232:233] offset:17408                  // 000000004E9C: D89A4400 0000E80E
	ds_write_b64 v14, v[234:235] offset:21568                  // 000000004EA4: D89A5440 0000EA0E
	s_waitcnt lgkmcnt(0)                                       // 000000004EAC: BF8CC07F
	s_barrier                                                  // 000000004EB0: BF8A0000
	s_mov_b32 m0, s68                                          // 000000004EB4: BEFC0044
	ds_read_b64 v[192:193], v13 offset:17408                   // 000000004EB8: D8EC4400 C000000D
	ds_read_b64 v[194:195], v13 offset:18432                   // 000000004EC0: D8EC4800 C200000D
	ds_read_b64 v[196:197], v13 offset:19456                   // 000000004EC8: D8EC4C00 C400000D
	ds_read_b64 v[198:199], v13 offset:20480                   // 000000004ED0: D8EC5000 C600000D
	buffer_load_dword v4, s[12:15], s60 offen lds              // 000000004ED8: E0511000 3C030004
	s_add_u32 m0, 0x880, m0                                    // 000000004EE0: 807C7CFF 00000880
	ds_read_b64 v[200:201], v13 offset:17536                   // 000000004EE8: D8EC4480 C800000D
	ds_read_b64 v[202:203], v13 offset:18560                   // 000000004EF0: D8EC4880 CA00000D
	ds_read_b64 v[204:205], v13 offset:19584                   // 000000004EF8: D8EC4C80 CC00000D
	ds_read_b64 v[206:207], v13 offset:20608                   // 000000004F00: D8EC5080 CE00000D
	buffer_load_dword v5, s[12:15], s60 offen lds              // 000000004F08: E0511000 3C030005
	s_add_u32 m0, 0x880, m0                                    // 000000004F10: 807C7CFF 00000880
	ds_read_b64 v[208:209], v13 offset:17664                   // 000000004F18: D8EC4500 D000000D
	ds_read_b64 v[210:211], v13 offset:18688                   // 000000004F20: D8EC4900 D200000D
	ds_read_b64 v[212:213], v13 offset:19712                   // 000000004F28: D8EC4D00 D400000D
	ds_read_b64 v[214:215], v13 offset:20736                   // 000000004F30: D8EC5100 D600000D
	buffer_load_dword v6, s[12:15], s60 offen lds              // 000000004F38: E0511000 3C030006
	s_add_u32 m0, 0x880, m0                                    // 000000004F40: 807C7CFF 00000880
	ds_read_b64 v[216:217], v13 offset:17792                   // 000000004F48: D8EC4580 D800000D
	ds_read_b64 v[218:219], v13 offset:18816                   // 000000004F50: D8EC4980 DA00000D
	ds_read_b64 v[220:221], v13 offset:19840                   // 000000004F58: D8EC4D80 DC00000D
	ds_read_b64 v[222:223], v13 offset:20864                   // 000000004F60: D8EC5180 DE00000D
	buffer_load_dword v7, s[12:15], s60 offen lds              // 000000004F68: E0511000 3C030007
	s_add_u32 m0, 0x880, m0                                    // 000000004F70: 807C7CFF 00000880
	s_add_i32 s60, s43, s60                                    // 000000004F78: 813C3C2B
	s_add_u32 s40, 0x80, s39                                   // 000000004F7C: 802827FF 00000080
	s_cmp_lt_u32 s40, s38                                      // 000000004F84: BF0A2628
	s_cselect_b32 s43, s43, 0                                  // 000000004F88: 852B802B
	s_nop 0                                                    // 000000004F8C: BF800000
	s_cmp_lt_i32 s52, s54                                      // 000000004F90: BF043634
	s_cbranch_scc1 label_0769                                  // 000000004F94: BF850043
	s_sub_i32 s40, s7, s52                                     // 000000004F98: 81A83407
	v_sub_i32 v16, s40, v30                                    // 000000004F9C: D29D0010 00023C28
	v_cmp_lt_i32_e64 s[72:73], 0, v16                          // 000000004FA4: D0C10048 00022080
	v_cmp_lt_i32_e64 s[74:75], 1, v16                          // 000000004FAC: D0C1004A 00022081
	v_cndmask_b32_e64 v64, v31, v64, s[72:73]                  // 000000004FB4: D1000040 0122811F
	v_cndmask_b32_e64 v65, v31, v65, s[74:75]                  // 000000004FBC: D1000041 012A831F
	v_cmp_lt_i32_e64 s[72:73], 2, v16                          // 000000004FC4: D0C10048 00022082
	v_cmp_lt_i32_e64 s[74:75], 3, v16                          // 000000004FCC: D0C1004A 00022083
	v_cndmask_b32_e64 v66, v31, v66, s[72:73]                  // 000000004FD4: D1000042 0122851F
	v_cndmask_b32_e64 v67, v31, v67, s[74:75]                  // 000000004FDC: D1000043 012A871F
	v_cmp_lt_i32_e64 s[72:73], 8, v16                          // 000000004FE4: D0C10048 00022088
	v_cmp_lt_i32_e64 s[74:75], 9, v16                          // 000000004FEC: D0C1004A 00022089
	v_cndmask_b32_e64 v68, v31, v68, s[72:73]                  // 000000004FF4: D1000044 0122891F
	v_cndmask_b32_e64 v69, v31, v69, s[74:75]                  // 000000004FFC: D1000045 012A8B1F
	v_cmp_lt_i32_e64 s[72:73], 10, v16                         // 000000005004: D0C10048 0002208A
	v_cmp_lt_i32_e64 s[74:75], 11, v16                         // 00000000500C: D0C1004A 0002208B
	v_cndmask_b32_e64 v70, v31, v70, s[72:73]                  // 000000005014: D1000046 01228D1F
	v_cndmask_b32_e64 v71, v31, v71, s[74:75]                  // 00000000501C: D1000047 012A8F1F
	v_cmp_lt_i32_e64 s[72:73], 16, v16                         // 000000005024: D0C10048 00022090
	v_cmp_lt_i32_e64 s[74:75], 17, v16                         // 00000000502C: D0C1004A 00022091
	v_cndmask_b32_e64 v72, v31, v72, s[72:73]                  // 000000005034: D1000048 0122911F
	v_cndmask_b32_e64 v73, v31, v73, s[74:75]                  // 00000000503C: D1000049 012A931F
	v_cmp_lt_i32_e64 s[72:73], 18, v16                         // 000000005044: D0C10048 00022092
	v_cmp_lt_i32_e64 s[74:75], 19, v16                         // 00000000504C: D0C1004A 00022093
	v_cndmask_b32_e64 v74, v31, v74, s[72:73]                  // 000000005054: D100004A 0122951F
	v_cndmask_b32_e64 v75, v31, v75, s[74:75]                  // 00000000505C: D100004B 012A971F
	v_cmp_lt_i32_e64 s[72:73], 24, v16                         // 000000005064: D0C10048 00022098
	v_cmp_lt_i32_e64 s[74:75], 25, v16                         // 00000000506C: D0C1004A 00022099
	v_cndmask_b32_e64 v76, v31, v76, s[72:73]                  // 000000005074: D100004C 0122991F
	v_cndmask_b32_e64 v77, v31, v77, s[74:75]                  // 00000000507C: D100004D 012A9B1F
	v_cmp_lt_i32_e64 s[72:73], 26, v16                         // 000000005084: D0C10048 0002209A
	v_cmp_lt_i32_e64 s[74:75], 27, v16                         // 00000000508C: D0C1004A 0002209B
	v_cndmask_b32_e64 v78, v31, v78, s[72:73]                  // 000000005094: D100004E 01229D1F
	v_cndmask_b32_e64 v79, v31, v79, s[74:75]                  // 00000000509C: D100004F 012A9F1F

00000000000050a4 <label_0769>:
	s_nop 0                                                    // 0000000050A4: BF800000
	s_waitcnt lgkmcnt(0)                                       // 0000000050A8: BF8CC07F
	s_barrier                                                  // 0000000050AC: BF8A0000
	v_mfma_f32_32x32x8_bf16 v[96:111], v[192:193], v[80:81], v[96:111]// 0000000050B0: D3E00060 0582A1C0
	v_max3_f32 v25, v64, v65, v28                              // 0000000050B8: D1D30019 04728340
	v_max3_f32 v25, v66, v67, v25                              // 0000000050C0: D1D30019 04668742
	v_max3_f32 v25, v68, v69, v25                              // 0000000050C8: D1D30019 04668B44
	v_max3_f32 v25, v70, v71, v25                              // 0000000050D0: D1D30019 04668F46
	v_max3_f32 v25, v72, v73, v25                              // 0000000050D8: D1D30019 04669348
	v_max3_f32 v25, v74, v75, v25                              // 0000000050E0: D1D30019 0466974A
	v_max3_f32 v25, v76, v77, v25                              // 0000000050E8: D1D30019 04669B4C
	v_mfma_f32_32x32x8_bf16 v[96:111], v[194:195], v[82:83], v[96:111]// 0000000050F0: D3E00060 0582A5C2
	v_max3_f32 v25, v78, v79, v25                              // 0000000050F8: D1D30019 04669F4E
	ds_permute_b32 v24, v32, v25                               // 000000005100: D87C0000 18001920
	v_mfma_f32_32x32x8_bf16 v[96:111], v[196:197], v[84:85], v[96:111]// 000000005108: D3E00060 0582A9C4
	v_nop                                                      // 000000005110: 7E000000
	s_nop 0                                                    // 000000005114: BF800000
	v_mfma_f32_32x32x8_bf16 v[96:111], v[198:199], v[86:87], v[96:111]// 000000005118: D3E00060 0582ADC6
	v_nop                                                      // 000000005120: 7E000000
	v_mfma_f32_32x32x8_bf16 v[112:127], v[200:201], v[80:81], v[112:127]// 000000005124: D3E00070 05C2A1C8
	s_waitcnt lgkmcnt(0)                                       // 00000000512C: BF8CC07F
	v_max_f32_e32 v25, v24, v25                                // 000000005130: 16323318
	v_sub_f32_e32 v20, v28, v25                                // 000000005134: 0428331C
	v_mov_b32_e32 v28, v25                                     // 000000005138: 7E380319
	v_mul_f32_e32 v27, s56, v25                                // 00000000513C: 0A363238
	v_mul_f32_e32 v20, s56, v20                                // 000000005140: 0A282838
	v_mfma_f32_32x32x8_bf16 v[112:127], v[202:203], v[82:83], v[112:127]// 000000005144: D3E00070 05C2A5CA
	v_exp_f32_e32 v20, v20                                     // 00000000514C: 7E284114
	v_fma_f32 v64, v64, s56, -v27                              // 000000005150: D1CB0040 846C7140
	v_fma_f32 v65, v65, s56, -v27                              // 000000005158: D1CB0041 846C7141
	v_fma_f32 v66, v66, s56, -v27                              // 000000005160: D1CB0042 846C7142
	v_mfma_f32_32x32x8_bf16 v[112:127], v[204:205], v[84:85], v[112:127]// 000000005168: D3E00070 05C2A9CC
	v_fma_f32 v67, v67, s56, -v27                              // 000000005170: D1CB0043 846C7143
	v_fma_f32 v68, v68, s56, -v27                              // 000000005178: D1CB0044 846C7144
	v_fma_f32 v69, v69, s56, -v27                              // 000000005180: D1CB0045 846C7145
	v_fma_f32 v70, v70, s56, -v27                              // 000000005188: D1CB0046 846C7146
	v_fma_f32 v71, v71, s56, -v27                              // 000000005190: D1CB0047 846C7147
	v_fma_f32 v72, v72, s56, -v27                              // 000000005198: D1CB0048 846C7148
	v_fma_f32 v73, v73, s56, -v27                              // 0000000051A0: D1CB0049 846C7149
	v_mfma_f32_32x32x8_bf16 v[112:127], v[206:207], v[86:87], v[112:127]// 0000000051A8: D3E00070 05C2ADCE
	v_fma_f32 v74, v74, s56, -v27                              // 0000000051B0: D1CB004A 846C714A
	v_fma_f32 v75, v75, s56, -v27                              // 0000000051B8: D1CB004B 846C714B
	v_fma_f32 v76, v76, s56, -v27                              // 0000000051C0: D1CB004C 846C714C
	v_fma_f32 v77, v77, s56, -v27                              // 0000000051C8: D1CB004D 846C714D
	v_fma_f32 v78, v78, s56, -v27                              // 0000000051D0: D1CB004E 846C714E
	v_fma_f32 v79, v79, s56, -v27                              // 0000000051D8: D1CB004F 846C714F
	v_exp_f32_e32 v64, v64                                     // 0000000051E0: 7E804140
	v_mfma_f32_32x32x8_bf16 v[128:143], v[208:209], v[80:81], v[128:143]// 0000000051E4: D3E00080 0602A1D0
	v_exp_f32_e32 v65, v65                                     // 0000000051EC: 7E824141
	v_exp_f32_e32 v66, v66                                     // 0000000051F0: 7E844142
	v_mfma_f32_32x32x8_bf16 v[128:143], v[210:211], v[82:83], v[128:143]// 0000000051F4: D3E00080 0602A5D2
	v_exp_f32_e32 v67, v67                                     // 0000000051FC: 7E864143
	v_exp_f32_e32 v68, v68                                     // 000000005200: 7E884144
	v_mfma_f32_32x32x8_bf16 v[128:143], v[212:213], v[84:85], v[128:143]// 000000005204: D3E00080 0602A9D4
	v_exp_f32_e32 v69, v69                                     // 00000000520C: 7E8A4145
	v_exp_f32_e32 v70, v70                                     // 000000005210: 7E8C4146
	v_mfma_f32_32x32x8_bf16 v[128:143], v[214:215], v[86:87], v[128:143]// 000000005214: D3E00080 0602ADD6
	v_exp_f32_e32 v71, v71                                     // 00000000521C: 7E8E4147
	v_exp_f32_e32 v72, v72                                     // 000000005220: 7E904148
	v_mfma_f32_32x32x8_bf16 v[144:159], v[216:217], v[80:81], v[144:159]// 000000005224: D3E00090 0642A1D8
	v_exp_f32_e32 v73, v73                                     // 00000000522C: 7E924149
	v_exp_f32_e32 v74, v74                                     // 000000005230: 7E94414A
	v_mfma_f32_32x32x8_bf16 v[144:159], v[218:219], v[82:83], v[144:159]// 000000005234: D3E00090 0642A5DA
	v_exp_f32_e32 v75, v75                                     // 00000000523C: 7E96414B
	v_exp_f32_e32 v76, v76                                     // 000000005240: 7E98414C
	v_mfma_f32_32x32x8_bf16 v[144:159], v[220:221], v[84:85], v[144:159]// 000000005244: D3E00090 0642A9DC
	v_exp_f32_e32 v77, v77                                     // 00000000524C: 7E9A414D
	v_exp_f32_e32 v78, v78                                     // 000000005250: 7E9C414E
	v_mfma_f32_32x32x8_bf16 v[144:159], v[222:223], v[86:87], v[144:159]// 000000005254: D3E00090 0642ADDE
	s_nop 0                                                    // 00000000525C: BF800000
	s_waitcnt vmcnt(8)                                         // 000000005260: BF8C0F78
	s_barrier                                                  // 000000005264: BF8A0000
	s_nop 11                                                   // 000000005268: BF80000B
	s_nop 11                                                   // 00000000526C: BF80000B
	ds_read_b128 v[192:195], v12 offset:8704                   // 000000005270: D9FE2200 C000000C
	ds_read_b128 v[196:199], v12 offset:8736                   // 000000005278: D9FE2220 C400000C
	ds_read_b128 v[200:203], v12 offset:8768                   // 000000005280: D9FE2240 C800000C
	ds_read_b128 v[204:207], v12 offset:8800                   // 000000005288: D9FE2260 CC00000C
	s_nop 15                                                   // 000000005290: BF80000F
	s_nop 15                                                   // 000000005294: BF80000F
	s_nop 10                                                   // 000000005298: BF80000A
	buffer_load_dword v228, v8, s[16:19], s35 offen            // 00000000529C: E0501000 2304E408
	ds_read_b128 v[208:211], v12 offset:8832                   // 0000000052A4: D9FE2280 D000000C
	ds_read_b128 v[212:215], v12 offset:8864                   // 0000000052AC: D9FE22A0 D400000C
	buffer_load_dword v229, v9, s[16:19], s35 offen            // 0000000052B4: E0501000 2304E509
	ds_read_b128 v[216:219], v12 offset:8896                   // 0000000052BC: D9FE22C0 D800000C
	ds_read_b128 v[220:223], v12 offset:8928                   // 0000000052C4: D9FE22E0 DC00000C
	buffer_load_dword v230, v10, s[16:19], s35 offen           // 0000000052CC: E0501000 2304E60A
	buffer_load_dword v231, v11, s[16:19], s35 offen           // 0000000052D4: E0501000 2304E70B
	s_add_i32 s35, s44, s35                                    // 0000000052DC: 8123232C
	s_add_u32 s40, 0x60, s39                                   // 0000000052E0: 802827FF 00000060
	s_nop 0                                                    // 0000000052E8: BF800000
	s_cmp_lt_u32 s40, s38                                      // 0000000052EC: BF0A2628
	s_cselect_b32 s44, s44, 0                                  // 0000000052F0: 852C802C
	s_add_i32 s52, s52, s53                                    // 0000000052F4: 81343534
	s_addk_i32 s39, 0x20                                       // 0000000052F8: B7270020
	s_cmp_lt_i32 s39, s38                                      // 0000000052FC: BF042627
	s_nop 0                                                    // 000000005300: BF800000
	s_cbranch_scc0 label_0C5E                                  // 000000005304: BF84045C
	s_branch label_03A1                                        // 000000005308: BF82FB9E

000000000000530c <label_0803>:
	s_setprio 1                                                // 00000000530C: BF8F0001
	s_barrier                                                  // 000000005310: BF8A0000

0000000000005314 <label_0805>:
	buffer_load_dword v228, v8, s[16:19], s35 offen            // 000000005314: E0501000 2304E408
	ds_read_b128 v[192:195], v12 offset:8704                   // 00000000531C: D9FE2200 C000000C
	ds_read_b128 v[196:199], v12 offset:8736                   // 000000005324: D9FE2220 C400000C
	buffer_load_dword v229, v9, s[16:19], s35 offen            // 00000000532C: E0501000 2304E509
	ds_read_b128 v[200:203], v12 offset:8768                   // 000000005334: D9FE2240 C800000C
	ds_read_b128 v[204:207], v12 offset:8800                   // 00000000533C: D9FE2260 CC00000C
	buffer_load_dword v230, v10, s[16:19], s35 offen           // 000000005344: E0501000 2304E60A
	ds_read_b128 v[208:211], v12 offset:8832                   // 00000000534C: D9FE2280 D000000C
	ds_read_b128 v[212:215], v12 offset:8864                   // 000000005354: D9FE22A0 D400000C
	buffer_load_dword v231, v11, s[16:19], s35 offen           // 00000000535C: E0501000 2304E70B
	ds_read_b128 v[216:219], v12 offset:8896                   // 000000005364: D9FE22C0 D800000C
	ds_read_b128 v[220:223], v12 offset:8928                   // 00000000536C: D9FE22E0 DC00000C
	s_add_i32 s35, s44, s35                                    // 000000005374: 8123232C
	s_add_u32 s40, 64, s39                                     // 000000005378: 802827C0
	s_nop 0                                                    // 00000000537C: BF800000
	s_cmp_lt_u32 s40, s38                                      // 000000005380: BF0A2628
	s_cselect_b32 s44, s44, 0                                  // 000000005384: 852C802C
	s_waitcnt vmcnt(8) lgkmcnt(0)                              // 000000005388: BF8C0078
	s_barrier                                                  // 00000000538C: BF8A0000
	v_perm_b32 v232, v225, v224, s50                           // 000000005390: D1ED00E8 00CBC1E1
	v_perm_b32 v234, v225, v224, s49                           // 000000005398: D1ED00EA 00C7C1E1
	v_perm_b32 v233, v227, v226, s50                           // 0000000053A0: D1ED00E9 00CBC5E3
	v_perm_b32 v235, v227, v226, s49                           // 0000000053A8: D1ED00EB 00C7C5E3
	ds_write_b64 v14, v[232:233] offset:17408                  // 0000000053B0: D89A4400 0000E80E
	ds_write_b64 v14, v[234:235] offset:21568                  // 0000000053B8: D89A5440 0000EA0E
	s_nop 0                                                    // 0000000053C0: BF800000
	s_barrier                                                  // 0000000053C4: BF8A0000
	v_mfma_f32_32x32x8_bf16 v[80:95], v[192:193], v[160:161], 0// 0000000053C8: D3E00050 020341C0
	v_exp_f32_e32 v79, v79                                     // 0000000053D0: 7E9E414F
	v_mul_f32_e32 v22, v20, v22                                // 0000000053D4: 0A2C2D14
	v_add_f32_e32 v38, v65, v64                                // 0000000053D8: 024C8141
	v_add_f32_e32 v38, v66, v38                                // 0000000053DC: 024C4D42
	v_mfma_f32_32x32x8_bf16 v[80:95], v[194:195], v[162:163], v[80:95]// 0000000053E0: D3E00050 054345C2
	v_add_f32_e32 v38, v67, v38                                // 0000000053E8: 024C4D43
	v_add_f32_e32 v38, v68, v38                                // 0000000053EC: 024C4D44
	v_add_f32_e32 v38, v69, v38                                // 0000000053F0: 024C4D45
	v_add_f32_e32 v38, v70, v38                                // 0000000053F4: 024C4D46
	v_add_f32_e32 v38, v71, v38                                // 0000000053F8: 024C4D47
	v_add_f32_e32 v38, v72, v38                                // 0000000053FC: 024C4D48
	v_add_f32_e32 v38, v73, v38                                // 000000005400: 024C4D49
	v_mfma_f32_32x32x8_bf16 v[80:95], v[196:197], v[164:165], v[80:95]// 000000005404: D3E00050 054349C4
	v_add_f32_e32 v38, v74, v38                                // 00000000540C: 024C4D4A
	v_add_f32_e32 v38, v75, v38                                // 000000005410: 024C4D4B
	v_add_f32_e32 v38, v76, v38                                // 000000005414: 024C4D4C
	v_add_f32_e32 v38, v77, v38                                // 000000005418: 024C4D4D
	v_add_f32_e32 v38, v78, v38                                // 00000000541C: 024C4D4E
	v_add_f32_e32 v38, v79, v38                                // 000000005420: 024C4D4F
	v_add_f32_e32 v22, v38, v22                                // 000000005424: 022C2D26
	v_mfma_f32_32x32x8_bf16 v[80:95], v[198:199], v[166:167], v[80:95]// 000000005428: D3E00050 05434DC6
	s_waitcnt lgkmcnt(0)                                       // 000000005430: BF8CC07F
	s_barrier                                                  // 000000005434: BF8A0000
	v_mfma_f32_32x32x8_bf16 v[80:95], v[200:201], v[168:169], v[80:95]// 000000005438: D3E00050 054351C8
	v_mul_f32_e32 v96, v20, v96                                // 000000005440: 0AC0C114
	v_mul_f32_e32 v97, v20, v97                                // 000000005444: 0AC2C314
	v_mul_f32_e32 v98, v20, v98                                // 000000005448: 0AC4C514
	v_mul_f32_e32 v99, v20, v99                                // 00000000544C: 0AC6C714
	v_mul_f32_e32 v100, v20, v100                              // 000000005450: 0AC8C914
	v_mul_f32_e32 v101, v20, v101                              // 000000005454: 0ACACB14
	v_mul_f32_e32 v102, v20, v102                              // 000000005458: 0ACCCD14
	v_mfma_f32_32x32x8_bf16 v[80:95], v[202:203], v[170:171], v[80:95]// 00000000545C: D3E00050 054355CA
	v_mul_f32_e32 v103, v20, v103                              // 000000005464: 0ACECF14
	v_mul_f32_e32 v104, v20, v104                              // 000000005468: 0AD0D114
	v_mul_f32_e32 v105, v20, v105                              // 00000000546C: 0AD2D314
	v_mul_f32_e32 v106, v20, v106                              // 000000005470: 0AD4D514
	v_mul_f32_e32 v107, v20, v107                              // 000000005474: 0AD6D714
	v_mul_f32_e32 v108, v20, v108                              // 000000005478: 0AD8D914
	v_mul_f32_e32 v109, v20, v109                              // 00000000547C: 0ADADB14
	v_mfma_f32_32x32x8_bf16 v[80:95], v[204:205], v[172:173], v[80:95]// 000000005480: D3E00050 054359CC
	v_mul_f32_e32 v110, v20, v110                              // 000000005488: 0ADCDD14
	v_mul_f32_e32 v111, v20, v111                              // 00000000548C: 0ADEDF14
	v_mul_f32_e32 v112, v20, v112                              // 000000005490: 0AE0E114
	v_mul_f32_e32 v113, v20, v113                              // 000000005494: 0AE2E314
	v_mul_f32_e32 v114, v20, v114                              // 000000005498: 0AE4E514
	v_mul_f32_e32 v115, v20, v115                              // 00000000549C: 0AE6E714
	v_mul_f32_e32 v116, v20, v116                              // 0000000054A0: 0AE8E914
	v_mfma_f32_32x32x8_bf16 v[80:95], v[206:207], v[174:175], v[80:95]// 0000000054A4: D3E00050 05435DCE
	v_mul_f32_e32 v117, v20, v117                              // 0000000054AC: 0AEAEB14
	v_mul_f32_e32 v118, v20, v118                              // 0000000054B0: 0AECED14
	v_mul_f32_e32 v119, v20, v119                              // 0000000054B4: 0AEEEF14
	v_mul_f32_e32 v120, v20, v120                              // 0000000054B8: 0AF0F114
	v_mul_f32_e32 v121, v20, v121                              // 0000000054BC: 0AF2F314
	v_mul_f32_e32 v122, v20, v122                              // 0000000054C0: 0AF4F514
	v_mul_f32_e32 v123, v20, v123                              // 0000000054C4: 0AF6F714
	v_mfma_f32_32x32x8_bf16 v[80:95], v[208:209], v[176:177], v[80:95]// 0000000054C8: D3E00050 054361D0
	v_mul_f32_e32 v124, v20, v124                              // 0000000054D0: 0AF8F914
	v_mul_f32_e32 v125, v20, v125                              // 0000000054D4: 0AFAFB14
	v_mul_f32_e32 v126, v20, v126                              // 0000000054D8: 0AFCFD14
	v_mul_f32_e32 v127, v20, v127                              // 0000000054DC: 0AFEFF14
	v_mul_f32_e32 v128, v20, v128                              // 0000000054E0: 0B010114
	v_mul_f32_e32 v129, v20, v129                              // 0000000054E4: 0B030314
	v_mul_f32_e32 v130, v20, v130                              // 0000000054E8: 0B050514
	v_mfma_f32_32x32x8_bf16 v[80:95], v[210:211], v[178:179], v[80:95]// 0000000054EC: D3E00050 054365D2
	v_mul_f32_e32 v131, v20, v131                              // 0000000054F4: 0B070714
	v_mul_f32_e32 v132, v20, v132                              // 0000000054F8: 0B090914
	v_mul_f32_e32 v133, v20, v133                              // 0000000054FC: 0B0B0B14
	v_mul_f32_e32 v134, v20, v134                              // 000000005500: 0B0D0D14
	v_mul_f32_e32 v135, v20, v135                              // 000000005504: 0B0F0F14
	v_mul_f32_e32 v136, v20, v136                              // 000000005508: 0B111114
	v_mul_f32_e32 v137, v20, v137                              // 00000000550C: 0B131314
	v_mfma_f32_32x32x8_bf16 v[80:95], v[212:213], v[180:181], v[80:95]// 000000005510: D3E00050 054369D4
	v_mul_f32_e32 v138, v20, v138                              // 000000005518: 0B151514
	v_mul_f32_e32 v139, v20, v139                              // 00000000551C: 0B171714
	v_mul_f32_e32 v140, v20, v140                              // 000000005520: 0B191914
	v_mul_f32_e32 v141, v20, v141                              // 000000005524: 0B1B1B14
	v_mul_f32_e32 v142, v20, v142                              // 000000005528: 0B1D1D14
	v_mul_f32_e32 v143, v20, v143                              // 00000000552C: 0B1F1F14
	v_mul_f32_e32 v144, v20, v144                              // 000000005530: 0B212114
	v_mfma_f32_32x32x8_bf16 v[80:95], v[214:215], v[182:183], v[80:95]// 000000005534: D3E00050 05436DD6
	v_mul_f32_e32 v145, v20, v145                              // 00000000553C: 0B232314
	v_mul_f32_e32 v146, v20, v146                              // 000000005540: 0B252514
	v_mul_f32_e32 v147, v20, v147                              // 000000005544: 0B272714
	v_mul_f32_e32 v148, v20, v148                              // 000000005548: 0B292914
	v_mul_f32_e32 v149, v20, v149                              // 00000000554C: 0B2B2B14
	v_mul_f32_e32 v150, v20, v150                              // 000000005550: 0B2D2D14
	v_mul_f32_e32 v151, v20, v151                              // 000000005554: 0B2F2F14
	v_mfma_f32_32x32x8_bf16 v[80:95], v[216:217], v[184:185], v[80:95]// 000000005558: D3E00050 054371D8
	v_mul_f32_e32 v152, v20, v152                              // 000000005560: 0B313114
	v_mul_f32_e32 v153, v20, v153                              // 000000005564: 0B333314
	v_mul_f32_e32 v154, v20, v154                              // 000000005568: 0B353514
	v_mul_f32_e32 v155, v20, v155                              // 00000000556C: 0B373714
	v_mul_f32_e32 v156, v20, v156                              // 000000005570: 0B393914
	v_mul_f32_e32 v157, v20, v157                              // 000000005574: 0B3B3B14
	v_mul_f32_e32 v158, v20, v158                              // 000000005578: 0B3D3D14
	v_mfma_f32_32x32x8_bf16 v[80:95], v[218:219], v[186:187], v[80:95]// 00000000557C: D3E00050 054375DA
	v_mul_f32_e32 v159, v20, v159                              // 000000005584: 0B3F3F14
	v_cmp_u_f32_e64 s[70:71], v64, v64                         // 000000005588: D0480046 00028140
	v_bfe_u32 v40, v64, 16, 1                                  // 000000005590: D1C80028 02052140
	v_add3_u32 v40, v64, v40, v43                              // 000000005598: D1FF0028 04AE5140
	v_cndmask_b32_e64 v16, v40, v42, s[70:71]                  // 0000000055A0: D1000010 011A5528
	v_lshrrev_b32_e32 v16, 16, v16                             // 0000000055A8: 20202090
	v_cmp_u_f32_e64 s[70:71], v65, v65                         // 0000000055AC: D0480046 00028341
	v_bfe_u32 v40, v65, 16, 1                                  // 0000000055B4: D1C80028 02052141
	v_add3_u32 v40, v65, v40, v43                              // 0000000055BC: D1FF0028 04AE5141
	v_cndmask_b32_e64 v17, v40, v42, s[70:71]                  // 0000000055C4: D1000011 011A5528
	v_and_or_b32 v64, v17, v41, v16                            // 0000000055CC: D2010040 04425311
	v_cmp_u_f32_e64 s[70:71], v66, v66                         // 0000000055D4: D0480046 00028542
	v_bfe_u32 v40, v66, 16, 1                                  // 0000000055DC: D1C80028 02052142
	v_add3_u32 v40, v66, v40, v43                              // 0000000055E4: D1FF0028 04AE5142
	v_cndmask_b32_e64 v16, v40, v42, s[70:71]                  // 0000000055EC: D1000010 011A5528
	v_lshrrev_b32_e32 v16, 16, v16                             // 0000000055F4: 20202090
	v_cmp_u_f32_e64 s[70:71], v67, v67                         // 0000000055F8: D0480046 00028743
	v_bfe_u32 v40, v67, 16, 1                                  // 000000005600: D1C80028 02052143
	v_add3_u32 v40, v67, v40, v43                              // 000000005608: D1FF0028 04AE5143
	v_cndmask_b32_e64 v17, v40, v42, s[70:71]                  // 000000005610: D1000011 011A5528
	v_and_or_b32 v65, v17, v41, v16                            // 000000005618: D2010041 04425311
	v_cmp_u_f32_e64 s[70:71], v68, v68                         // 000000005620: D0480046 00028944
	v_bfe_u32 v40, v68, 16, 1                                  // 000000005628: D1C80028 02052144
	v_add3_u32 v40, v68, v40, v43                              // 000000005630: D1FF0028 04AE5144
	v_cndmask_b32_e64 v16, v40, v42, s[70:71]                  // 000000005638: D1000010 011A5528
	v_lshrrev_b32_e32 v16, 16, v16                             // 000000005640: 20202090
	v_cmp_u_f32_e64 s[70:71], v69, v69                         // 000000005644: D0480046 00028B45
	v_bfe_u32 v40, v69, 16, 1                                  // 00000000564C: D1C80028 02052145
	v_add3_u32 v40, v69, v40, v43                              // 000000005654: D1FF0028 04AE5145
	v_cndmask_b32_e64 v17, v40, v42, s[70:71]                  // 00000000565C: D1000011 011A5528
	v_and_or_b32 v66, v17, v41, v16                            // 000000005664: D2010042 04425311
	v_cmp_u_f32_e64 s[70:71], v70, v70                         // 00000000566C: D0480046 00028D46
	v_bfe_u32 v40, v70, 16, 1                                  // 000000005674: D1C80028 02052146
	v_add3_u32 v40, v70, v40, v43                              // 00000000567C: D1FF0028 04AE5146
	v_cndmask_b32_e64 v16, v40, v42, s[70:71]                  // 000000005684: D1000010 011A5528
	v_lshrrev_b32_e32 v16, 16, v16                             // 00000000568C: 20202090
	v_cmp_u_f32_e64 s[70:71], v71, v71                         // 000000005690: D0480046 00028F47
	v_bfe_u32 v40, v71, 16, 1                                  // 000000005698: D1C80028 02052147
	v_add3_u32 v40, v71, v40, v43                              // 0000000056A0: D1FF0028 04AE5147
	v_cndmask_b32_e64 v17, v40, v42, s[70:71]                  // 0000000056A8: D1000011 011A5528
	v_and_or_b32 v67, v17, v41, v16                            // 0000000056B0: D2010043 04425311
	v_cmp_u_f32_e64 s[70:71], v72, v72                         // 0000000056B8: D0480046 00029148
	v_bfe_u32 v40, v72, 16, 1                                  // 0000000056C0: D1C80028 02052148
	v_add3_u32 v40, v72, v40, v43                              // 0000000056C8: D1FF0028 04AE5148
	v_cndmask_b32_e64 v16, v40, v42, s[70:71]                  // 0000000056D0: D1000010 011A5528
	v_lshrrev_b32_e32 v16, 16, v16                             // 0000000056D8: 20202090
	v_cmp_u_f32_e64 s[70:71], v73, v73                         // 0000000056DC: D0480046 00029349
	v_bfe_u32 v40, v73, 16, 1                                  // 0000000056E4: D1C80028 02052149
	v_add3_u32 v40, v73, v40, v43                              // 0000000056EC: D1FF0028 04AE5149
	v_cndmask_b32_e64 v17, v40, v42, s[70:71]                  // 0000000056F4: D1000011 011A5528
	v_and_or_b32 v68, v17, v41, v16                            // 0000000056FC: D2010044 04425311
	v_cmp_u_f32_e64 s[70:71], v74, v74                         // 000000005704: D0480046 0002954A
	v_bfe_u32 v40, v74, 16, 1                                  // 00000000570C: D1C80028 0205214A
	v_add3_u32 v40, v74, v40, v43                              // 000000005714: D1FF0028 04AE514A
	v_cndmask_b32_e64 v16, v40, v42, s[70:71]                  // 00000000571C: D1000010 011A5528
	v_lshrrev_b32_e32 v16, 16, v16                             // 000000005724: 20202090
	v_cmp_u_f32_e64 s[70:71], v75, v75                         // 000000005728: D0480046 0002974B
	v_bfe_u32 v40, v75, 16, 1                                  // 000000005730: D1C80028 0205214B
	v_add3_u32 v40, v75, v40, v43                              // 000000005738: D1FF0028 04AE514B
	v_cndmask_b32_e64 v17, v40, v42, s[70:71]                  // 000000005740: D1000011 011A5528
	v_and_or_b32 v69, v17, v41, v16                            // 000000005748: D2010045 04425311
	v_mfma_f32_32x32x8_bf16 v[80:95], v[220:221], v[188:189], v[80:95]// 000000005750: D3E00050 054379DC
	v_cmp_u_f32_e64 s[70:71], v76, v76                         // 000000005758: D0480046 0002994C
	v_bfe_u32 v40, v76, 16, 1                                  // 000000005760: D1C80028 0205214C
	v_add3_u32 v40, v76, v40, v43                              // 000000005768: D1FF0028 04AE514C
	v_cndmask_b32_e64 v16, v40, v42, s[70:71]                  // 000000005770: D1000010 011A5528
	v_lshrrev_b32_e32 v16, 16, v16                             // 000000005778: 20202090
	v_cmp_u_f32_e64 s[70:71], v77, v77                         // 00000000577C: D0480046 00029B4D
	v_bfe_u32 v40, v77, 16, 1                                  // 000000005784: D1C80028 0205214D
	v_add3_u32 v40, v77, v40, v43                              // 00000000578C: D1FF0028 04AE514D
	v_cndmask_b32_e64 v17, v40, v42, s[70:71]                  // 000000005794: D1000011 011A5528
	v_and_or_b32 v70, v17, v41, v16                            // 00000000579C: D2010046 04425311
	v_cmp_u_f32_e64 s[70:71], v78, v78                         // 0000000057A4: D0480046 00029D4E
	v_bfe_u32 v40, v78, 16, 1                                  // 0000000057AC: D1C80028 0205214E
	v_add3_u32 v40, v78, v40, v43                              // 0000000057B4: D1FF0028 04AE514E
	v_cndmask_b32_e64 v16, v40, v42, s[70:71]                  // 0000000057BC: D1000010 011A5528
	v_lshrrev_b32_e32 v16, 16, v16                             // 0000000057C4: 20202090
	v_cmp_u_f32_e64 s[70:71], v79, v79                         // 0000000057C8: D0480046 00029F4F
	v_bfe_u32 v40, v79, 16, 1                                  // 0000000057D0: D1C80028 0205214F
	v_add3_u32 v40, v79, v40, v43                              // 0000000057D8: D1FF0028 04AE514F
	v_cndmask_b32_e64 v17, v40, v42, s[70:71]                  // 0000000057E0: D1000011 011A5528
	v_and_or_b32 v71, v17, v41, v16                            // 0000000057E8: D2010047 04425311
	v_mfma_f32_32x32x8_bf16 v[80:95], v[222:223], v[190:191], v[80:95]// 0000000057F0: D3E00050 05437DDE
	s_barrier                                                  // 0000000057F8: BF8A0000
	s_cmp_lt_i32 s52, s54                                      // 0000000057FC: BF043634
	s_cbranch_scc1 label_0984                                  // 000000005800: BF850043
	s_sub_i32 s40, s7, s52                                     // 000000005804: 81A83407
	v_sub_i32 v16, s40, v30                                    // 000000005808: D29D0010 00023C28
	v_cmp_lt_i32_e64 s[72:73], 0, v16                          // 000000005810: D0C10048 00022080
	v_cmp_lt_i32_e64 s[74:75], 1, v16                          // 000000005818: D0C1004A 00022081
	v_cndmask_b32_e64 v80, v31, v80, s[72:73]                  // 000000005820: D1000050 0122A11F
	v_cndmask_b32_e64 v81, v31, v81, s[74:75]                  // 000000005828: D1000051 012AA31F
	v_cmp_lt_i32_e64 s[72:73], 2, v16                          // 000000005830: D0C10048 00022082
	v_cmp_lt_i32_e64 s[74:75], 3, v16                          // 000000005838: D0C1004A 00022083
	v_cndmask_b32_e64 v82, v31, v82, s[72:73]                  // 000000005840: D1000052 0122A51F
	v_cndmask_b32_e64 v83, v31, v83, s[74:75]                  // 000000005848: D1000053 012AA71F
	v_cmp_lt_i32_e64 s[72:73], 8, v16                          // 000000005850: D0C10048 00022088
	v_cmp_lt_i32_e64 s[74:75], 9, v16                          // 000000005858: D0C1004A 00022089
	v_cndmask_b32_e64 v84, v31, v84, s[72:73]                  // 000000005860: D1000054 0122A91F
	v_cndmask_b32_e64 v85, v31, v85, s[74:75]                  // 000000005868: D1000055 012AAB1F
	v_cmp_lt_i32_e64 s[72:73], 10, v16                         // 000000005870: D0C10048 0002208A
	v_cmp_lt_i32_e64 s[74:75], 11, v16                         // 000000005878: D0C1004A 0002208B
	v_cndmask_b32_e64 v86, v31, v86, s[72:73]                  // 000000005880: D1000056 0122AD1F
	v_cndmask_b32_e64 v87, v31, v87, s[74:75]                  // 000000005888: D1000057 012AAF1F
	v_cmp_lt_i32_e64 s[72:73], 16, v16                         // 000000005890: D0C10048 00022090
	v_cmp_lt_i32_e64 s[74:75], 17, v16                         // 000000005898: D0C1004A 00022091
	v_cndmask_b32_e64 v88, v31, v88, s[72:73]                  // 0000000058A0: D1000058 0122B11F
	v_cndmask_b32_e64 v89, v31, v89, s[74:75]                  // 0000000058A8: D1000059 012AB31F
	v_cmp_lt_i32_e64 s[72:73], 18, v16                         // 0000000058B0: D0C10048 00022092
	v_cmp_lt_i32_e64 s[74:75], 19, v16                         // 0000000058B8: D0C1004A 00022093
	v_cndmask_b32_e64 v90, v31, v90, s[72:73]                  // 0000000058C0: D100005A 0122B51F
	v_cndmask_b32_e64 v91, v31, v91, s[74:75]                  // 0000000058C8: D100005B 012AB71F
	v_cmp_lt_i32_e64 s[72:73], 24, v16                         // 0000000058D0: D0C10048 00022098
	v_cmp_lt_i32_e64 s[74:75], 25, v16                         // 0000000058D8: D0C1004A 00022099
	v_cndmask_b32_e64 v92, v31, v92, s[72:73]                  // 0000000058E0: D100005C 0122B91F
	v_cndmask_b32_e64 v93, v31, v93, s[74:75]                  // 0000000058E8: D100005D 012ABB1F
	v_cmp_lt_i32_e64 s[72:73], 26, v16                         // 0000000058F0: D0C10048 0002209A
	v_cmp_lt_i32_e64 s[74:75], 27, v16                         // 0000000058F8: D0C1004A 0002209B
	v_cndmask_b32_e64 v94, v31, v94, s[72:73]                  // 000000005900: D100005E 0122BD1F
	v_cndmask_b32_e64 v95, v31, v95, s[74:75]                  // 000000005908: D100005F 012ABF1F

0000000000005910 <label_0984>:
	s_nop 0                                                    // 000000005910: BF800000
	s_nop 0                                                    // 000000005914: BF800000
	s_nop 14                                                   // 000000005918: BF80000E
	s_mov_b32 m0, s69                                          // 00000000591C: BEFC0045
	ds_read_b64 v[192:193], v13 offset:17408                   // 000000005920: D8EC4400 C000000D
	ds_read_b64 v[194:195], v13 offset:18432                   // 000000005928: D8EC4800 C200000D
	ds_read_b64 v[196:197], v13 offset:19456                   // 000000005930: D8EC4C00 C400000D
	ds_read_b64 v[198:199], v13 offset:20480                   // 000000005938: D8EC5000 C600000D
	ds_read_b64 v[200:201], v13 offset:17536                   // 000000005940: D8EC4480 C800000D
	ds_read_b64 v[202:203], v13 offset:18560                   // 000000005948: D8EC4880 CA00000D
	ds_read_b64 v[204:205], v13 offset:19584                   // 000000005950: D8EC4C80 CC00000D
	ds_read_b64 v[206:207], v13 offset:20608                   // 000000005958: D8EC5080 CE00000D
	s_nop 15                                                   // 000000005960: BF80000F
	s_nop 15                                                   // 000000005964: BF80000F
	buffer_load_dword v4, s[12:15], s60 offen lds              // 000000005968: E0511000 3C030004
	s_add_u32 m0, 0x880, m0                                    // 000000005970: 807C7CFF 00000880
	ds_read_b64 v[208:209], v13 offset:17664                   // 000000005978: D8EC4500 D000000D
	ds_read_b64 v[210:211], v13 offset:18688                   // 000000005980: D8EC4900 D200000D
	ds_read_b64 v[212:213], v13 offset:19712                   // 000000005988: D8EC4D00 D400000D
	ds_read_b64 v[214:215], v13 offset:20736                   // 000000005990: D8EC5100 D600000D
	buffer_load_dword v5, s[12:15], s60 offen lds              // 000000005998: E0511000 3C030005
	s_add_u32 m0, 0x880, m0                                    // 0000000059A0: 807C7CFF 00000880
	ds_read_b64 v[216:217], v13 offset:17792                   // 0000000059A8: D8EC4580 D800000D
	ds_read_b64 v[218:219], v13 offset:18816                   // 0000000059B0: D8EC4980 DA00000D
	ds_read_b64 v[220:221], v13 offset:19840                   // 0000000059B8: D8EC4D80 DC00000D
	ds_read_b64 v[222:223], v13 offset:20864                   // 0000000059C0: D8EC5180 DE00000D
	buffer_load_dword v6, s[12:15], s60 offen lds              // 0000000059C8: E0511000 3C030006
	s_add_u32 m0, 0x880, m0                                    // 0000000059D0: 807C7CFF 00000880
	buffer_load_dword v7, s[12:15], s60 offen lds              // 0000000059D8: E0511000 3C030007
	s_add_u32 m0, 0x880, m0                                    // 0000000059E0: 807C7CFF 00000880
	s_add_i32 s60, s43, s60                                    // 0000000059E8: 813C3C2B
	s_add_u32 s40, 0x80, s39                                   // 0000000059EC: 802827FF 00000080
	s_cmp_lt_u32 s40, s38                                      // 0000000059F4: BF0A2628
	s_cselect_b32 s43, s43, 0                                  // 0000000059F8: 852B802B
	s_add_i32 s52, s52, s53                                    // 0000000059FC: 81343534
	s_addk_i32 s39, 0x20                                       // 000000005A00: B7270020
	s_cmp_lt_i32 s39, s38                                      // 000000005A04: BF042627
	s_waitcnt vmcnt(8) lgkmcnt(0)                              // 000000005A08: BF8C0078
	s_barrier                                                  // 000000005A0C: BF8A0000
	v_mfma_f32_32x32x8_bf16 v[96:111], v[192:193], v[64:65], v[96:111]// 000000005A10: D3E00060 058281C0
	v_max3_f32 v25, v80, v81, v28                              // 000000005A18: D1D30019 0472A350
	v_max3_f32 v25, v82, v83, v25                              // 000000005A20: D1D30019 0466A752
	v_max3_f32 v25, v84, v85, v25                              // 000000005A28: D1D30019 0466AB54
	v_max3_f32 v25, v86, v87, v25                              // 000000005A30: D1D30019 0466AF56
	v_max3_f32 v25, v88, v89, v25                              // 000000005A38: D1D30019 0466B358
	v_max3_f32 v25, v90, v91, v25                              // 000000005A40: D1D30019 0466B75A
	v_max3_f32 v25, v92, v93, v25                              // 000000005A48: D1D30019 0466BB5C
	v_mfma_f32_32x32x8_bf16 v[96:111], v[194:195], v[66:67], v[96:111]// 000000005A50: D3E00060 058285C2
	v_max3_f32 v25, v94, v95, v25                              // 000000005A58: D1D30019 0466BF5E
	ds_permute_b32 v24, v32, v25                               // 000000005A60: D87C0000 18001920
	v_mfma_f32_32x32x8_bf16 v[96:111], v[196:197], v[68:69], v[96:111]// 000000005A68: D3E00060 058289C4
	v_nop                                                      // 000000005A70: 7E000000
	s_nop 0                                                    // 000000005A74: BF800000
	v_mfma_f32_32x32x8_bf16 v[96:111], v[198:199], v[70:71], v[96:111]// 000000005A78: D3E00060 05828DC6
	v_nop                                                      // 000000005A80: 7E000000
	v_mfma_f32_32x32x8_bf16 v[112:127], v[200:201], v[64:65], v[112:127]// 000000005A84: D3E00070 05C281C8
	s_waitcnt lgkmcnt(0)                                       // 000000005A8C: BF8CC07F
	v_max_f32_e32 v25, v24, v25                                // 000000005A90: 16323318
	v_sub_f32_e32 v20, v28, v25                                // 000000005A94: 0428331C
	v_mov_b32_e32 v28, v25                                     // 000000005A98: 7E380319
	v_mul_f32_e32 v27, s56, v25                                // 000000005A9C: 0A363238
	v_mul_f32_e32 v20, s56, v20                                // 000000005AA0: 0A282838
	v_mfma_f32_32x32x8_bf16 v[112:127], v[202:203], v[66:67], v[112:127]// 000000005AA4: D3E00070 05C285CA
	v_exp_f32_e32 v20, v20                                     // 000000005AAC: 7E284114
	v_fma_f32 v80, v80, s56, -v27                              // 000000005AB0: D1CB0050 846C7150
	v_fma_f32 v81, v81, s56, -v27                              // 000000005AB8: D1CB0051 846C7151
	v_fma_f32 v82, v82, s56, -v27                              // 000000005AC0: D1CB0052 846C7152
	v_mfma_f32_32x32x8_bf16 v[112:127], v[204:205], v[68:69], v[112:127]// 000000005AC8: D3E00070 05C289CC
	v_fma_f32 v83, v83, s56, -v27                              // 000000005AD0: D1CB0053 846C7153
	v_fma_f32 v84, v84, s56, -v27                              // 000000005AD8: D1CB0054 846C7154
	v_fma_f32 v85, v85, s56, -v27                              // 000000005AE0: D1CB0055 846C7155
	v_fma_f32 v86, v86, s56, -v27                              // 000000005AE8: D1CB0056 846C7156
	v_fma_f32 v87, v87, s56, -v27                              // 000000005AF0: D1CB0057 846C7157
	v_fma_f32 v88, v88, s56, -v27                              // 000000005AF8: D1CB0058 846C7158
	v_fma_f32 v89, v89, s56, -v27                              // 000000005B00: D1CB0059 846C7159
	v_mfma_f32_32x32x8_bf16 v[112:127], v[206:207], v[70:71], v[112:127]// 000000005B08: D3E00070 05C28DCE
	v_fma_f32 v90, v90, s56, -v27                              // 000000005B10: D1CB005A 846C715A
	v_fma_f32 v91, v91, s56, -v27                              // 000000005B18: D1CB005B 846C715B
	v_fma_f32 v92, v92, s56, -v27                              // 000000005B20: D1CB005C 846C715C
	v_fma_f32 v93, v93, s56, -v27                              // 000000005B28: D1CB005D 846C715D
	v_fma_f32 v94, v94, s56, -v27                              // 000000005B30: D1CB005E 846C715E
	v_fma_f32 v95, v95, s56, -v27                              // 000000005B38: D1CB005F 846C715F
	v_exp_f32_e32 v80, v80                                     // 000000005B40: 7EA04150
	v_mfma_f32_32x32x8_bf16 v[128:143], v[208:209], v[64:65], v[128:143]// 000000005B44: D3E00080 060281D0
	v_exp_f32_e32 v81, v81                                     // 000000005B4C: 7EA24151
	v_exp_f32_e32 v82, v82                                     // 000000005B50: 7EA44152
	v_mfma_f32_32x32x8_bf16 v[128:143], v[210:211], v[66:67], v[128:143]// 000000005B54: D3E00080 060285D2
	v_exp_f32_e32 v83, v83                                     // 000000005B5C: 7EA64153
	v_exp_f32_e32 v84, v84                                     // 000000005B60: 7EA84154
	v_mfma_f32_32x32x8_bf16 v[128:143], v[212:213], v[68:69], v[128:143]// 000000005B64: D3E00080 060289D4
	v_exp_f32_e32 v85, v85                                     // 000000005B6C: 7EAA4155
	v_exp_f32_e32 v86, v86                                     // 000000005B70: 7EAC4156
	v_mfma_f32_32x32x8_bf16 v[128:143], v[214:215], v[70:71], v[128:143]// 000000005B74: D3E00080 06028DD6
	v_exp_f32_e32 v87, v87                                     // 000000005B7C: 7EAE4157
	v_exp_f32_e32 v88, v88                                     // 000000005B80: 7EB04158
	v_mfma_f32_32x32x8_bf16 v[144:159], v[216:217], v[64:65], v[144:159]// 000000005B84: D3E00090 064281D8
	v_exp_f32_e32 v89, v89                                     // 000000005B8C: 7EB24159
	v_exp_f32_e32 v90, v90                                     // 000000005B90: 7EB4415A
	v_mfma_f32_32x32x8_bf16 v[144:159], v[218:219], v[66:67], v[144:159]// 000000005B94: D3E00090 064285DA
	v_exp_f32_e32 v91, v91                                     // 000000005B9C: 7EB6415B
	v_exp_f32_e32 v92, v92                                     // 000000005BA0: 7EB8415C
	v_mfma_f32_32x32x8_bf16 v[144:159], v[220:221], v[68:69], v[144:159]// 000000005BA4: D3E00090 064289DC
	v_exp_f32_e32 v93, v93                                     // 000000005BAC: 7EBA415D
	v_exp_f32_e32 v94, v94                                     // 000000005BB0: 7EBC415E
	v_mfma_f32_32x32x8_bf16 v[144:159], v[222:223], v[70:71], v[144:159]// 000000005BB4: D3E00090 06428DDE
	v_nop                                                      // 000000005BBC: 7E000000
	s_cbranch_scc0 label_0C5E                                  // 000000005BC0: BF84022D
	buffer_load_dword v224, v8, s[16:19], s35 offen            // 000000005BC4: E0501000 2304E008
	ds_read_b128 v[192:195], v12                               // 000000005BCC: D9FE0000 C000000C
	ds_read_b128 v[196:199], v12 offset:32                     // 000000005BD4: D9FE0020 C400000C
	buffer_load_dword v225, v9, s[16:19], s35 offen            // 000000005BDC: E0501000 2304E109
	ds_read_b128 v[200:203], v12 offset:64                     // 000000005BE4: D9FE0040 C800000C
	ds_read_b128 v[204:207], v12 offset:96                     // 000000005BEC: D9FE0060 CC00000C
	buffer_load_dword v226, v10, s[16:19], s35 offen           // 000000005BF4: E0501000 2304E20A
	ds_read_b128 v[208:211], v12 offset:128                    // 000000005BFC: D9FE0080 D000000C
	ds_read_b128 v[212:215], v12 offset:160                    // 000000005C04: D9FE00A0 D400000C
	buffer_load_dword v227, v11, s[16:19], s35 offen           // 000000005C0C: E0501000 2304E30B
	ds_read_b128 v[216:219], v12 offset:192                    // 000000005C14: D9FE00C0 D800000C
	ds_read_b128 v[220:223], v12 offset:224                    // 000000005C1C: D9FE00E0 DC00000C
	s_add_i32 s35, s44, s35                                    // 000000005C24: 8123232C
	s_add_u32 s40, 64, s39                                     // 000000005C28: 802827C0
	s_nop 0                                                    // 000000005C2C: BF800000
	s_cmp_lt_u32 s40, s38                                      // 000000005C30: BF0A2628
	s_cselect_b32 s44, s44, 0                                  // 000000005C34: 852C802C
	s_waitcnt vmcnt(8) lgkmcnt(0)                              // 000000005C38: BF8C0078
	s_barrier                                                  // 000000005C3C: BF8A0000
	v_perm_b32 v232, v229, v228, s50                           // 000000005C40: D1ED00E8 00CBC9E5
	v_perm_b32 v234, v229, v228, s49                           // 000000005C48: D1ED00EA 00C7C9E5
	v_perm_b32 v233, v231, v230, s50                           // 000000005C50: D1ED00E9 00CBCDE7
	v_perm_b32 v235, v231, v230, s49                           // 000000005C58: D1ED00EB 00C7CDE7
	ds_write_b64 v14, v[232:233] offset:17408                  // 000000005C60: D89A4400 0000E80E
	ds_write_b64 v14, v[234:235] offset:21568                  // 000000005C68: D89A5440 0000EA0E
	s_nop 0                                                    // 000000005C70: BF800000
	s_barrier                                                  // 000000005C74: BF8A0000
	v_mfma_f32_32x32x8_bf16 v[64:79], v[192:193], v[160:161], 0// 000000005C78: D3E00040 020341C0
	v_exp_f32_e32 v95, v95                                     // 000000005C80: 7EBE415F
	v_mul_f32_e32 v22, v20, v22                                // 000000005C84: 0A2C2D14
	v_add_f32_e32 v38, v81, v80                                // 000000005C88: 024CA151
	v_add_f32_e32 v38, v82, v38                                // 000000005C8C: 024C4D52
	v_mfma_f32_32x32x8_bf16 v[64:79], v[194:195], v[162:163], v[64:79]// 000000005C90: D3E00040 050345C2
	v_add_f32_e32 v38, v83, v38                                // 000000005C98: 024C4D53
	v_add_f32_e32 v38, v84, v38                                // 000000005C9C: 024C4D54
	v_add_f32_e32 v38, v85, v38                                // 000000005CA0: 024C4D55
	v_add_f32_e32 v38, v86, v38                                // 000000005CA4: 024C4D56
	v_add_f32_e32 v38, v87, v38                                // 000000005CA8: 024C4D57
	v_add_f32_e32 v38, v88, v38                                // 000000005CAC: 024C4D58
	v_add_f32_e32 v38, v89, v38                                // 000000005CB0: 024C4D59
	v_mfma_f32_32x32x8_bf16 v[64:79], v[196:197], v[164:165], v[64:79]// 000000005CB4: D3E00040 050349C4
	v_add_f32_e32 v38, v90, v38                                // 000000005CBC: 024C4D5A
	v_add_f32_e32 v38, v91, v38                                // 000000005CC0: 024C4D5B
	v_add_f32_e32 v38, v92, v38                                // 000000005CC4: 024C4D5C
	v_add_f32_e32 v38, v93, v38                                // 000000005CC8: 024C4D5D
	v_add_f32_e32 v38, v94, v38                                // 000000005CCC: 024C4D5E
	v_add_f32_e32 v38, v95, v38                                // 000000005CD0: 024C4D5F
	v_add_f32_e32 v22, v38, v22                                // 000000005CD4: 022C2D26
	v_mfma_f32_32x32x8_bf16 v[64:79], v[198:199], v[166:167], v[64:79]// 000000005CD8: D3E00040 05034DC6
	s_waitcnt lgkmcnt(0)                                       // 000000005CE0: BF8CC07F
	s_barrier                                                  // 000000005CE4: BF8A0000
	v_mfma_f32_32x32x8_bf16 v[64:79], v[200:201], v[168:169], v[64:79]// 000000005CE8: D3E00040 050351C8
	v_mul_f32_e32 v96, v20, v96                                // 000000005CF0: 0AC0C114
	v_mul_f32_e32 v97, v20, v97                                // 000000005CF4: 0AC2C314
	v_mul_f32_e32 v98, v20, v98                                // 000000005CF8: 0AC4C514
	v_mul_f32_e32 v99, v20, v99                                // 000000005CFC: 0AC6C714
	v_mul_f32_e32 v100, v20, v100                              // 000000005D00: 0AC8C914
	v_mul_f32_e32 v101, v20, v101                              // 000000005D04: 0ACACB14
	v_mul_f32_e32 v102, v20, v102                              // 000000005D08: 0ACCCD14
	v_mfma_f32_32x32x8_bf16 v[64:79], v[202:203], v[170:171], v[64:79]// 000000005D0C: D3E00040 050355CA
	v_mul_f32_e32 v103, v20, v103                              // 000000005D14: 0ACECF14
	v_mul_f32_e32 v104, v20, v104                              // 000000005D18: 0AD0D114
	v_mul_f32_e32 v105, v20, v105                              // 000000005D1C: 0AD2D314
	v_mul_f32_e32 v106, v20, v106                              // 000000005D20: 0AD4D514
	v_mul_f32_e32 v107, v20, v107                              // 000000005D24: 0AD6D714
	v_mul_f32_e32 v108, v20, v108                              // 000000005D28: 0AD8D914
	v_mul_f32_e32 v109, v20, v109                              // 000000005D2C: 0ADADB14
	v_mfma_f32_32x32x8_bf16 v[64:79], v[204:205], v[172:173], v[64:79]// 000000005D30: D3E00040 050359CC
	v_mul_f32_e32 v110, v20, v110                              // 000000005D38: 0ADCDD14
	v_mul_f32_e32 v111, v20, v111                              // 000000005D3C: 0ADEDF14
	v_mul_f32_e32 v112, v20, v112                              // 000000005D40: 0AE0E114
	v_mul_f32_e32 v113, v20, v113                              // 000000005D44: 0AE2E314
	v_mul_f32_e32 v114, v20, v114                              // 000000005D48: 0AE4E514
	v_mul_f32_e32 v115, v20, v115                              // 000000005D4C: 0AE6E714
	v_mul_f32_e32 v116, v20, v116                              // 000000005D50: 0AE8E914
	v_mfma_f32_32x32x8_bf16 v[64:79], v[206:207], v[174:175], v[64:79]// 000000005D54: D3E00040 05035DCE
	v_mul_f32_e32 v117, v20, v117                              // 000000005D5C: 0AEAEB14
	v_mul_f32_e32 v118, v20, v118                              // 000000005D60: 0AECED14
	v_mul_f32_e32 v119, v20, v119                              // 000000005D64: 0AEEEF14
	v_mul_f32_e32 v120, v20, v120                              // 000000005D68: 0AF0F114
	v_mul_f32_e32 v121, v20, v121                              // 000000005D6C: 0AF2F314
	v_mul_f32_e32 v122, v20, v122                              // 000000005D70: 0AF4F514
	v_mul_f32_e32 v123, v20, v123                              // 000000005D74: 0AF6F714
	v_mfma_f32_32x32x8_bf16 v[64:79], v[208:209], v[176:177], v[64:79]// 000000005D78: D3E00040 050361D0
	v_mul_f32_e32 v124, v20, v124                              // 000000005D80: 0AF8F914
	v_mul_f32_e32 v125, v20, v125                              // 000000005D84: 0AFAFB14
	v_mul_f32_e32 v126, v20, v126                              // 000000005D88: 0AFCFD14
	v_mul_f32_e32 v127, v20, v127                              // 000000005D8C: 0AFEFF14
	v_mul_f32_e32 v128, v20, v128                              // 000000005D90: 0B010114
	v_mul_f32_e32 v129, v20, v129                              // 000000005D94: 0B030314
	v_mul_f32_e32 v130, v20, v130                              // 000000005D98: 0B050514
	v_mfma_f32_32x32x8_bf16 v[64:79], v[210:211], v[178:179], v[64:79]// 000000005D9C: D3E00040 050365D2
	v_mul_f32_e32 v131, v20, v131                              // 000000005DA4: 0B070714
	v_mul_f32_e32 v132, v20, v132                              // 000000005DA8: 0B090914
	v_mul_f32_e32 v133, v20, v133                              // 000000005DAC: 0B0B0B14
	v_mul_f32_e32 v134, v20, v134                              // 000000005DB0: 0B0D0D14
	v_mul_f32_e32 v135, v20, v135                              // 000000005DB4: 0B0F0F14
	v_mul_f32_e32 v136, v20, v136                              // 000000005DB8: 0B111114
	v_mul_f32_e32 v137, v20, v137                              // 000000005DBC: 0B131314
	v_mfma_f32_32x32x8_bf16 v[64:79], v[212:213], v[180:181], v[64:79]// 000000005DC0: D3E00040 050369D4
	v_mul_f32_e32 v138, v20, v138                              // 000000005DC8: 0B151514
	v_mul_f32_e32 v139, v20, v139                              // 000000005DCC: 0B171714
	v_mul_f32_e32 v140, v20, v140                              // 000000005DD0: 0B191914
	v_mul_f32_e32 v141, v20, v141                              // 000000005DD4: 0B1B1B14
	v_mul_f32_e32 v142, v20, v142                              // 000000005DD8: 0B1D1D14
	v_mul_f32_e32 v143, v20, v143                              // 000000005DDC: 0B1F1F14
	v_mul_f32_e32 v144, v20, v144                              // 000000005DE0: 0B212114
	v_mfma_f32_32x32x8_bf16 v[64:79], v[214:215], v[182:183], v[64:79]// 000000005DE4: D3E00040 05036DD6
	v_mul_f32_e32 v145, v20, v145                              // 000000005DEC: 0B232314
	v_mul_f32_e32 v146, v20, v146                              // 000000005DF0: 0B252514
	v_mul_f32_e32 v147, v20, v147                              // 000000005DF4: 0B272714
	v_mul_f32_e32 v148, v20, v148                              // 000000005DF8: 0B292914
	v_mul_f32_e32 v149, v20, v149                              // 000000005DFC: 0B2B2B14
	v_mul_f32_e32 v150, v20, v150                              // 000000005E00: 0B2D2D14
	v_mul_f32_e32 v151, v20, v151                              // 000000005E04: 0B2F2F14
	v_mfma_f32_32x32x8_bf16 v[64:79], v[216:217], v[184:185], v[64:79]// 000000005E08: D3E00040 050371D8
	v_mul_f32_e32 v152, v20, v152                              // 000000005E10: 0B313114
	v_mul_f32_e32 v153, v20, v153                              // 000000005E14: 0B333314
	v_mul_f32_e32 v154, v20, v154                              // 000000005E18: 0B353514
	v_mul_f32_e32 v155, v20, v155                              // 000000005E1C: 0B373714
	v_mul_f32_e32 v156, v20, v156                              // 000000005E20: 0B393914
	v_mul_f32_e32 v157, v20, v157                              // 000000005E24: 0B3B3B14
	v_mul_f32_e32 v158, v20, v158                              // 000000005E28: 0B3D3D14
	v_mfma_f32_32x32x8_bf16 v[64:79], v[218:219], v[186:187], v[64:79]// 000000005E2C: D3E00040 050375DA
	v_mul_f32_e32 v159, v20, v159                              // 000000005E34: 0B3F3F14
	v_cmp_u_f32_e64 s[70:71], v80, v80                         // 000000005E38: D0480046 0002A150
	v_bfe_u32 v40, v80, 16, 1                                  // 000000005E40: D1C80028 02052150
	v_add3_u32 v40, v80, v40, v43                              // 000000005E48: D1FF0028 04AE5150
	v_cndmask_b32_e64 v16, v40, v42, s[70:71]                  // 000000005E50: D1000010 011A5528
	v_lshrrev_b32_e32 v16, 16, v16                             // 000000005E58: 20202090
	v_cmp_u_f32_e64 s[70:71], v81, v81                         // 000000005E5C: D0480046 0002A351
	v_bfe_u32 v40, v81, 16, 1                                  // 000000005E64: D1C80028 02052151
	v_add3_u32 v40, v81, v40, v43                              // 000000005E6C: D1FF0028 04AE5151
	v_cndmask_b32_e64 v17, v40, v42, s[70:71]                  // 000000005E74: D1000011 011A5528
	v_and_or_b32 v80, v17, v41, v16                            // 000000005E7C: D2010050 04425311
	v_cmp_u_f32_e64 s[70:71], v82, v82                         // 000000005E84: D0480046 0002A552
	v_bfe_u32 v40, v82, 16, 1                                  // 000000005E8C: D1C80028 02052152
	v_add3_u32 v40, v82, v40, v43                              // 000000005E94: D1FF0028 04AE5152
	v_cndmask_b32_e64 v16, v40, v42, s[70:71]                  // 000000005E9C: D1000010 011A5528
	v_lshrrev_b32_e32 v16, 16, v16                             // 000000005EA4: 20202090
	v_cmp_u_f32_e64 s[70:71], v83, v83                         // 000000005EA8: D0480046 0002A753
	v_bfe_u32 v40, v83, 16, 1                                  // 000000005EB0: D1C80028 02052153
	v_add3_u32 v40, v83, v40, v43                              // 000000005EB8: D1FF0028 04AE5153
	v_cndmask_b32_e64 v17, v40, v42, s[70:71]                  // 000000005EC0: D1000011 011A5528
	v_and_or_b32 v81, v17, v41, v16                            // 000000005EC8: D2010051 04425311
	v_cmp_u_f32_e64 s[70:71], v84, v84                         // 000000005ED0: D0480046 0002A954
	v_bfe_u32 v40, v84, 16, 1                                  // 000000005ED8: D1C80028 02052154
	v_add3_u32 v40, v84, v40, v43                              // 000000005EE0: D1FF0028 04AE5154
	v_cndmask_b32_e64 v16, v40, v42, s[70:71]                  // 000000005EE8: D1000010 011A5528
	v_lshrrev_b32_e32 v16, 16, v16                             // 000000005EF0: 20202090
	v_cmp_u_f32_e64 s[70:71], v85, v85                         // 000000005EF4: D0480046 0002AB55
	v_bfe_u32 v40, v85, 16, 1                                  // 000000005EFC: D1C80028 02052155
	v_add3_u32 v40, v85, v40, v43                              // 000000005F04: D1FF0028 04AE5155
	v_cndmask_b32_e64 v17, v40, v42, s[70:71]                  // 000000005F0C: D1000011 011A5528
	v_and_or_b32 v82, v17, v41, v16                            // 000000005F14: D2010052 04425311
	v_cmp_u_f32_e64 s[70:71], v86, v86                         // 000000005F1C: D0480046 0002AD56
	v_bfe_u32 v40, v86, 16, 1                                  // 000000005F24: D1C80028 02052156
	v_add3_u32 v40, v86, v40, v43                              // 000000005F2C: D1FF0028 04AE5156
	v_cndmask_b32_e64 v16, v40, v42, s[70:71]                  // 000000005F34: D1000010 011A5528
	v_lshrrev_b32_e32 v16, 16, v16                             // 000000005F3C: 20202090
	v_cmp_u_f32_e64 s[70:71], v87, v87                         // 000000005F40: D0480046 0002AF57
	v_bfe_u32 v40, v87, 16, 1                                  // 000000005F48: D1C80028 02052157
	v_add3_u32 v40, v87, v40, v43                              // 000000005F50: D1FF0028 04AE5157
	v_cndmask_b32_e64 v17, v40, v42, s[70:71]                  // 000000005F58: D1000011 011A5528
	v_and_or_b32 v83, v17, v41, v16                            // 000000005F60: D2010053 04425311
	v_cmp_u_f32_e64 s[70:71], v88, v88                         // 000000005F68: D0480046 0002B158
	v_bfe_u32 v40, v88, 16, 1                                  // 000000005F70: D1C80028 02052158
	v_add3_u32 v40, v88, v40, v43                              // 000000005F78: D1FF0028 04AE5158
	v_cndmask_b32_e64 v16, v40, v42, s[70:71]                  // 000000005F80: D1000010 011A5528
	v_lshrrev_b32_e32 v16, 16, v16                             // 000000005F88: 20202090
	v_cmp_u_f32_e64 s[70:71], v89, v89                         // 000000005F8C: D0480046 0002B359
	v_bfe_u32 v40, v89, 16, 1                                  // 000000005F94: D1C80028 02052159
	v_add3_u32 v40, v89, v40, v43                              // 000000005F9C: D1FF0028 04AE5159
	v_cndmask_b32_e64 v17, v40, v42, s[70:71]                  // 000000005FA4: D1000011 011A5528
	v_and_or_b32 v84, v17, v41, v16                            // 000000005FAC: D2010054 04425311
	v_cmp_u_f32_e64 s[70:71], v90, v90                         // 000000005FB4: D0480046 0002B55A
	v_bfe_u32 v40, v90, 16, 1                                  // 000000005FBC: D1C80028 0205215A
	v_add3_u32 v40, v90, v40, v43                              // 000000005FC4: D1FF0028 04AE515A
	v_cndmask_b32_e64 v16, v40, v42, s[70:71]                  // 000000005FCC: D1000010 011A5528
	v_lshrrev_b32_e32 v16, 16, v16                             // 000000005FD4: 20202090
	v_cmp_u_f32_e64 s[70:71], v91, v91                         // 000000005FD8: D0480046 0002B75B
	v_bfe_u32 v40, v91, 16, 1                                  // 000000005FE0: D1C80028 0205215B
	v_add3_u32 v40, v91, v40, v43                              // 000000005FE8: D1FF0028 04AE515B
	v_cndmask_b32_e64 v17, v40, v42, s[70:71]                  // 000000005FF0: D1000011 011A5528
	v_and_or_b32 v85, v17, v41, v16                            // 000000005FF8: D2010055 04425311
	v_mfma_f32_32x32x8_bf16 v[64:79], v[220:221], v[188:189], v[64:79]// 000000006000: D3E00040 050379DC
	v_cmp_u_f32_e64 s[70:71], v92, v92                         // 000000006008: D0480046 0002B95C
	v_bfe_u32 v40, v92, 16, 1                                  // 000000006010: D1C80028 0205215C
	v_add3_u32 v40, v92, v40, v43                              // 000000006018: D1FF0028 04AE515C
	v_cndmask_b32_e64 v16, v40, v42, s[70:71]                  // 000000006020: D1000010 011A5528
	v_lshrrev_b32_e32 v16, 16, v16                             // 000000006028: 20202090
	v_cmp_u_f32_e64 s[70:71], v93, v93                         // 00000000602C: D0480046 0002BB5D
	v_bfe_u32 v40, v93, 16, 1                                  // 000000006034: D1C80028 0205215D
	v_add3_u32 v40, v93, v40, v43                              // 00000000603C: D1FF0028 04AE515D
	v_cndmask_b32_e64 v17, v40, v42, s[70:71]                  // 000000006044: D1000011 011A5528
	v_and_or_b32 v86, v17, v41, v16                            // 00000000604C: D2010056 04425311
	v_cmp_u_f32_e64 s[70:71], v94, v94                         // 000000006054: D0480046 0002BD5E
	v_bfe_u32 v40, v94, 16, 1                                  // 00000000605C: D1C80028 0205215E
	v_add3_u32 v40, v94, v40, v43                              // 000000006064: D1FF0028 04AE515E
	v_cndmask_b32_e64 v16, v40, v42, s[70:71]                  // 00000000606C: D1000010 011A5528
	v_lshrrev_b32_e32 v16, 16, v16                             // 000000006074: 20202090
	v_cmp_u_f32_e64 s[70:71], v95, v95                         // 000000006078: D0480046 0002BF5F
	v_bfe_u32 v40, v95, 16, 1                                  // 000000006080: D1C80028 0205215F
	v_add3_u32 v40, v95, v40, v43                              // 000000006088: D1FF0028 04AE515F
	v_cndmask_b32_e64 v17, v40, v42, s[70:71]                  // 000000006090: D1000011 011A5528
	v_and_or_b32 v87, v17, v41, v16                            // 000000006098: D2010057 04425311
	v_mfma_f32_32x32x8_bf16 v[64:79], v[222:223], v[190:191], v[64:79]// 0000000060A0: D3E00040 05037DDE
	s_barrier                                                  // 0000000060A8: BF8A0000
	s_cmp_lt_i32 s52, s54                                      // 0000000060AC: BF043634
	s_cbranch_scc1 label_0BB0                                  // 0000000060B0: BF850043
	s_sub_i32 s40, s7, s52                                     // 0000000060B4: 81A83407
	v_sub_i32 v16, s40, v30                                    // 0000000060B8: D29D0010 00023C28
	v_cmp_lt_i32_e64 s[72:73], 0, v16                          // 0000000060C0: D0C10048 00022080
	v_cmp_lt_i32_e64 s[74:75], 1, v16                          // 0000000060C8: D0C1004A 00022081
	v_cndmask_b32_e64 v64, v31, v64, s[72:73]                  // 0000000060D0: D1000040 0122811F
	v_cndmask_b32_e64 v65, v31, v65, s[74:75]                  // 0000000060D8: D1000041 012A831F
	v_cmp_lt_i32_e64 s[72:73], 2, v16                          // 0000000060E0: D0C10048 00022082
	v_cmp_lt_i32_e64 s[74:75], 3, v16                          // 0000000060E8: D0C1004A 00022083
	v_cndmask_b32_e64 v66, v31, v66, s[72:73]                  // 0000000060F0: D1000042 0122851F
	v_cndmask_b32_e64 v67, v31, v67, s[74:75]                  // 0000000060F8: D1000043 012A871F
	v_cmp_lt_i32_e64 s[72:73], 8, v16                          // 000000006100: D0C10048 00022088
	v_cmp_lt_i32_e64 s[74:75], 9, v16                          // 000000006108: D0C1004A 00022089
	v_cndmask_b32_e64 v68, v31, v68, s[72:73]                  // 000000006110: D1000044 0122891F
	v_cndmask_b32_e64 v69, v31, v69, s[74:75]                  // 000000006118: D1000045 012A8B1F
	v_cmp_lt_i32_e64 s[72:73], 10, v16                         // 000000006120: D0C10048 0002208A
	v_cmp_lt_i32_e64 s[74:75], 11, v16                         // 000000006128: D0C1004A 0002208B
	v_cndmask_b32_e64 v70, v31, v70, s[72:73]                  // 000000006130: D1000046 01228D1F
	v_cndmask_b32_e64 v71, v31, v71, s[74:75]                  // 000000006138: D1000047 012A8F1F
	v_cmp_lt_i32_e64 s[72:73], 16, v16                         // 000000006140: D0C10048 00022090
	v_cmp_lt_i32_e64 s[74:75], 17, v16                         // 000000006148: D0C1004A 00022091
	v_cndmask_b32_e64 v72, v31, v72, s[72:73]                  // 000000006150: D1000048 0122911F
	v_cndmask_b32_e64 v73, v31, v73, s[74:75]                  // 000000006158: D1000049 012A931F
	v_cmp_lt_i32_e64 s[72:73], 18, v16                         // 000000006160: D0C10048 00022092
	v_cmp_lt_i32_e64 s[74:75], 19, v16                         // 000000006168: D0C1004A 00022093
	v_cndmask_b32_e64 v74, v31, v74, s[72:73]                  // 000000006170: D100004A 0122951F
	v_cndmask_b32_e64 v75, v31, v75, s[74:75]                  // 000000006178: D100004B 012A971F
	v_cmp_lt_i32_e64 s[72:73], 24, v16                         // 000000006180: D0C10048 00022098
	v_cmp_lt_i32_e64 s[74:75], 25, v16                         // 000000006188: D0C1004A 00022099
	v_cndmask_b32_e64 v76, v31, v76, s[72:73]                  // 000000006190: D100004C 0122991F
	v_cndmask_b32_e64 v77, v31, v77, s[74:75]                  // 000000006198: D100004D 012A9B1F
	v_cmp_lt_i32_e64 s[72:73], 26, v16                         // 0000000061A0: D0C10048 0002209A
	v_cmp_lt_i32_e64 s[74:75], 27, v16                         // 0000000061A8: D0C1004A 0002209B
	v_cndmask_b32_e64 v78, v31, v78, s[72:73]                  // 0000000061B0: D100004E 01229D1F
	v_cndmask_b32_e64 v79, v31, v79, s[74:75]                  // 0000000061B8: D100004F 012A9F1F

00000000000061c0 <label_0BB0>:
	s_nop 0                                                    // 0000000061C0: BF800000
	s_nop 0                                                    // 0000000061C4: BF800000
	s_nop 14                                                   // 0000000061C8: BF80000E
	s_mov_b32 m0, s68                                          // 0000000061CC: BEFC0044
	ds_read_b64 v[192:193], v13 offset:17408                   // 0000000061D0: D8EC4400 C000000D
	ds_read_b64 v[194:195], v13 offset:18432                   // 0000000061D8: D8EC4800 C200000D
	ds_read_b64 v[196:197], v13 offset:19456                   // 0000000061E0: D8EC4C00 C400000D
	ds_read_b64 v[198:199], v13 offset:20480                   // 0000000061E8: D8EC5000 C600000D
	ds_read_b64 v[200:201], v13 offset:17536                   // 0000000061F0: D8EC4480 C800000D
	ds_read_b64 v[202:203], v13 offset:18560                   // 0000000061F8: D8EC4880 CA00000D
	ds_read_b64 v[204:205], v13 offset:19584                   // 000000006200: D8EC4C80 CC00000D
	ds_read_b64 v[206:207], v13 offset:20608                   // 000000006208: D8EC5080 CE00000D
	s_nop 15                                                   // 000000006210: BF80000F
	s_nop 15                                                   // 000000006214: BF80000F
	buffer_load_dword v4, s[12:15], s60 offen lds              // 000000006218: E0511000 3C030004
	s_add_u32 m0, 0x880, m0                                    // 000000006220: 807C7CFF 00000880
	ds_read_b64 v[208:209], v13 offset:17664                   // 000000006228: D8EC4500 D000000D
	ds_read_b64 v[210:211], v13 offset:18688                   // 000000006230: D8EC4900 D200000D
	ds_read_b64 v[212:213], v13 offset:19712                   // 000000006238: D8EC4D00 D400000D
	ds_read_b64 v[214:215], v13 offset:20736                   // 000000006240: D8EC5100 D600000D
	buffer_load_dword v5, s[12:15], s60 offen lds              // 000000006248: E0511000 3C030005
	s_add_u32 m0, 0x880, m0                                    // 000000006250: 807C7CFF 00000880
	ds_read_b64 v[216:217], v13 offset:17792                   // 000000006258: D8EC4580 D800000D
	ds_read_b64 v[218:219], v13 offset:18816                   // 000000006260: D8EC4980 DA00000D
	ds_read_b64 v[220:221], v13 offset:19840                   // 000000006268: D8EC4D80 DC00000D
	ds_read_b64 v[222:223], v13 offset:20864                   // 000000006270: D8EC5180 DE00000D
	buffer_load_dword v6, s[12:15], s60 offen lds              // 000000006278: E0511000 3C030006
	s_add_u32 m0, 0x880, m0                                    // 000000006280: 807C7CFF 00000880
	buffer_load_dword v7, s[12:15], s60 offen lds              // 000000006288: E0511000 3C030007
	s_add_u32 m0, 0x880, m0                                    // 000000006290: 807C7CFF 00000880
	s_add_i32 s60, s43, s60                                    // 000000006298: 813C3C2B
	s_add_u32 s40, 0x80, s39                                   // 00000000629C: 802827FF 00000080
	s_cmp_lt_u32 s40, s38                                      // 0000000062A4: BF0A2628
	s_cselect_b32 s43, s43, 0                                  // 0000000062A8: 852B802B
	s_add_i32 s52, s52, s53                                    // 0000000062AC: 81343534
	s_addk_i32 s39, 0x20                                       // 0000000062B0: B7270020
	s_cmp_lt_i32 s39, s38                                      // 0000000062B4: BF042627
	s_waitcnt vmcnt(8) lgkmcnt(0)                              // 0000000062B8: BF8C0078
	s_barrier                                                  // 0000000062BC: BF8A0000
	v_mfma_f32_32x32x8_bf16 v[96:111], v[192:193], v[80:81], v[96:111]// 0000000062C0: D3E00060 0582A1C0
	v_max3_f32 v25, v64, v65, v28                              // 0000000062C8: D1D30019 04728340
	v_max3_f32 v25, v66, v67, v25                              // 0000000062D0: D1D30019 04668742
	v_max3_f32 v25, v68, v69, v25                              // 0000000062D8: D1D30019 04668B44
	v_max3_f32 v25, v70, v71, v25                              // 0000000062E0: D1D30019 04668F46
	v_max3_f32 v25, v72, v73, v25                              // 0000000062E8: D1D30019 04669348
	v_max3_f32 v25, v74, v75, v25                              // 0000000062F0: D1D30019 0466974A
	v_max3_f32 v25, v76, v77, v25                              // 0000000062F8: D1D30019 04669B4C
	v_mfma_f32_32x32x8_bf16 v[96:111], v[194:195], v[82:83], v[96:111]// 000000006300: D3E00060 0582A5C2
	v_max3_f32 v25, v78, v79, v25                              // 000000006308: D1D30019 04669F4E
	ds_permute_b32 v24, v32, v25                               // 000000006310: D87C0000 18001920
	v_mfma_f32_32x32x8_bf16 v[96:111], v[196:197], v[84:85], v[96:111]// 000000006318: D3E00060 0582A9C4
	v_nop                                                      // 000000006320: 7E000000
	s_nop 0                                                    // 000000006324: BF800000
	v_mfma_f32_32x32x8_bf16 v[96:111], v[198:199], v[86:87], v[96:111]// 000000006328: D3E00060 0582ADC6
	v_nop                                                      // 000000006330: 7E000000
	v_mfma_f32_32x32x8_bf16 v[112:127], v[200:201], v[80:81], v[112:127]// 000000006334: D3E00070 05C2A1C8
	s_waitcnt lgkmcnt(0)                                       // 00000000633C: BF8CC07F
	v_max_f32_e32 v25, v24, v25                                // 000000006340: 16323318
	v_sub_f32_e32 v20, v28, v25                                // 000000006344: 0428331C
	v_mov_b32_e32 v28, v25                                     // 000000006348: 7E380319
	v_mul_f32_e32 v27, s56, v25                                // 00000000634C: 0A363238
	v_mul_f32_e32 v20, s56, v20                                // 000000006350: 0A282838
	v_mfma_f32_32x32x8_bf16 v[112:127], v[202:203], v[82:83], v[112:127]// 000000006354: D3E00070 05C2A5CA
	v_exp_f32_e32 v20, v20                                     // 00000000635C: 7E284114
	v_fma_f32 v64, v64, s56, -v27                              // 000000006360: D1CB0040 846C7140
	v_fma_f32 v65, v65, s56, -v27                              // 000000006368: D1CB0041 846C7141
	v_fma_f32 v66, v66, s56, -v27                              // 000000006370: D1CB0042 846C7142
	v_mfma_f32_32x32x8_bf16 v[112:127], v[204:205], v[84:85], v[112:127]// 000000006378: D3E00070 05C2A9CC
	v_fma_f32 v67, v67, s56, -v27                              // 000000006380: D1CB0043 846C7143
	v_fma_f32 v68, v68, s56, -v27                              // 000000006388: D1CB0044 846C7144
	v_fma_f32 v69, v69, s56, -v27                              // 000000006390: D1CB0045 846C7145
	v_fma_f32 v70, v70, s56, -v27                              // 000000006398: D1CB0046 846C7146
	v_fma_f32 v71, v71, s56, -v27                              // 0000000063A0: D1CB0047 846C7147
	v_fma_f32 v72, v72, s56, -v27                              // 0000000063A8: D1CB0048 846C7148
	v_fma_f32 v73, v73, s56, -v27                              // 0000000063B0: D1CB0049 846C7149
	v_mfma_f32_32x32x8_bf16 v[112:127], v[206:207], v[86:87], v[112:127]// 0000000063B8: D3E00070 05C2ADCE
	v_fma_f32 v74, v74, s56, -v27                              // 0000000063C0: D1CB004A 846C714A
	v_fma_f32 v75, v75, s56, -v27                              // 0000000063C8: D1CB004B 846C714B
	v_fma_f32 v76, v76, s56, -v27                              // 0000000063D0: D1CB004C 846C714C
	v_fma_f32 v77, v77, s56, -v27                              // 0000000063D8: D1CB004D 846C714D
	v_fma_f32 v78, v78, s56, -v27                              // 0000000063E0: D1CB004E 846C714E
	v_fma_f32 v79, v79, s56, -v27                              // 0000000063E8: D1CB004F 846C714F
	v_exp_f32_e32 v64, v64                                     // 0000000063F0: 7E804140
	v_mfma_f32_32x32x8_bf16 v[128:143], v[208:209], v[80:81], v[128:143]// 0000000063F4: D3E00080 0602A1D0
	v_exp_f32_e32 v65, v65                                     // 0000000063FC: 7E824141
	v_exp_f32_e32 v66, v66                                     // 000000006400: 7E844142
	v_mfma_f32_32x32x8_bf16 v[128:143], v[210:211], v[82:83], v[128:143]// 000000006404: D3E00080 0602A5D2
	v_exp_f32_e32 v67, v67                                     // 00000000640C: 7E864143
	v_exp_f32_e32 v68, v68                                     // 000000006410: 7E884144
	v_mfma_f32_32x32x8_bf16 v[128:143], v[212:213], v[84:85], v[128:143]// 000000006414: D3E00080 0602A9D4
	v_exp_f32_e32 v69, v69                                     // 00000000641C: 7E8A4145
	v_exp_f32_e32 v70, v70                                     // 000000006420: 7E8C4146
	v_mfma_f32_32x32x8_bf16 v[128:143], v[214:215], v[86:87], v[128:143]// 000000006424: D3E00080 0602ADD6
	v_exp_f32_e32 v71, v71                                     // 00000000642C: 7E8E4147
	v_exp_f32_e32 v72, v72                                     // 000000006430: 7E904148
	v_mfma_f32_32x32x8_bf16 v[144:159], v[216:217], v[80:81], v[144:159]// 000000006434: D3E00090 0642A1D8
	v_exp_f32_e32 v73, v73                                     // 00000000643C: 7E924149
	v_exp_f32_e32 v74, v74                                     // 000000006440: 7E94414A
	v_mfma_f32_32x32x8_bf16 v[144:159], v[218:219], v[82:83], v[144:159]// 000000006444: D3E00090 0642A5DA
	v_exp_f32_e32 v75, v75                                     // 00000000644C: 7E96414B
	v_exp_f32_e32 v76, v76                                     // 000000006450: 7E98414C
	v_mfma_f32_32x32x8_bf16 v[144:159], v[220:221], v[84:85], v[144:159]// 000000006454: D3E00090 0642A9DC
	v_exp_f32_e32 v77, v77                                     // 00000000645C: 7E9A414D
	v_exp_f32_e32 v78, v78                                     // 000000006460: 7E9C414E
	v_mfma_f32_32x32x8_bf16 v[144:159], v[222:223], v[86:87], v[144:159]// 000000006464: D3E00090 0642ADDE
	v_nop                                                      // 00000000646C: 7E000000
	s_cbranch_scc0 label_0C5E                                  // 000000006470: BF840001
	s_branch label_0805                                        // 000000006474: BF82FBA7

0000000000006478 <label_0C5E>:
	s_add_u32 s40, s38, 31                                     // 000000006478: 80289F26
	s_lshr_b32 s40, s40, 5                                     // 00000000647C: 8F288528
	s_and_b32 s40, 1, s40                                      // 000000006480: 86282881
	s_cmp_lt_i32 s40, 1                                        // 000000006484: BF048128
	s_cbranch_scc0 label_0D9F                                  // 000000006488: BF84013C
	s_waitcnt vmcnt(4)                                         // 00000000648C: BF8C0F74
	s_barrier                                                  // 000000006490: BF8A0000
	v_perm_b32 v232, v229, v228, s50                           // 000000006494: D1ED00E8 00CBC9E5
	v_perm_b32 v234, v229, v228, s49                           // 00000000649C: D1ED00EA 00C7C9E5
	v_perm_b32 v233, v231, v230, s50                           // 0000000064A4: D1ED00E9 00CBCDE7
	v_perm_b32 v235, v231, v230, s49                           // 0000000064AC: D1ED00EB 00C7CDE7
	ds_write_b64 v14, v[232:233] offset:17408                  // 0000000064B4: D89A4400 0000E80E
	ds_write_b64 v14, v[234:235] offset:21568                  // 0000000064BC: D89A5440 0000EA0E
	s_waitcnt lgkmcnt(0)                                       // 0000000064C4: BF8CC07F
	s_barrier                                                  // 0000000064C8: BF8A0000
	ds_read_b64 v[192:193], v13 offset:17408                   // 0000000064CC: D8EC4400 C000000D
	ds_read_b64 v[194:195], v13 offset:18432                   // 0000000064D4: D8EC4800 C200000D
	ds_read_b64 v[196:197], v13 offset:19456                   // 0000000064DC: D8EC4C00 C400000D
	ds_read_b64 v[198:199], v13 offset:20480                   // 0000000064E4: D8EC5000 C600000D
	ds_read_b64 v[200:201], v13 offset:17536                   // 0000000064EC: D8EC4480 C800000D
	ds_read_b64 v[202:203], v13 offset:18560                   // 0000000064F4: D8EC4880 CA00000D
	ds_read_b64 v[204:205], v13 offset:19584                   // 0000000064FC: D8EC4C80 CC00000D
	ds_read_b64 v[206:207], v13 offset:20608                   // 000000006504: D8EC5080 CE00000D
	ds_read_b64 v[208:209], v13 offset:17664                   // 00000000650C: D8EC4500 D000000D
	ds_read_b64 v[210:211], v13 offset:18688                   // 000000006514: D8EC4900 D200000D
	ds_read_b64 v[212:213], v13 offset:19712                   // 00000000651C: D8EC4D00 D400000D
	ds_read_b64 v[214:215], v13 offset:20736                   // 000000006524: D8EC5100 D600000D
	ds_read_b64 v[216:217], v13 offset:17792                   // 00000000652C: D8EC4580 D800000D
	ds_read_b64 v[218:219], v13 offset:18816                   // 000000006534: D8EC4980 DA00000D
	ds_read_b64 v[220:221], v13 offset:19840                   // 00000000653C: D8EC4D80 DC00000D
	ds_read_b64 v[222:223], v13 offset:20864                   // 000000006544: D8EC5180 DE00000D
	v_exp_f32_e32 v95, v95                                     // 00000000654C: 7EBE415F
	v_mul_f32_e32 v22, v20, v22                                // 000000006550: 0A2C2D14
	v_add_f32_e32 v38, v81, v80                                // 000000006554: 024CA151
	v_add_f32_e32 v38, v82, v38                                // 000000006558: 024C4D52
	v_add_f32_e32 v38, v83, v38                                // 00000000655C: 024C4D53
	v_add_f32_e32 v38, v84, v38                                // 000000006560: 024C4D54
	v_add_f32_e32 v38, v85, v38                                // 000000006564: 024C4D55
	v_add_f32_e32 v38, v86, v38                                // 000000006568: 024C4D56
	v_add_f32_e32 v38, v87, v38                                // 00000000656C: 024C4D57
	v_add_f32_e32 v38, v88, v38                                // 000000006570: 024C4D58
	v_add_f32_e32 v38, v89, v38                                // 000000006574: 024C4D59
	v_add_f32_e32 v38, v90, v38                                // 000000006578: 024C4D5A
	v_add_f32_e32 v38, v91, v38                                // 00000000657C: 024C4D5B
	v_add_f32_e32 v38, v92, v38                                // 000000006580: 024C4D5C
	v_add_f32_e32 v38, v93, v38                                // 000000006584: 024C4D5D
	v_add_f32_e32 v38, v94, v38                                // 000000006588: 024C4D5E
	v_add_f32_e32 v38, v95, v38                                // 00000000658C: 024C4D5F
	v_add_f32_e32 v22, v38, v22                                // 000000006590: 022C2D26
	v_mul_f32_e32 v96, v20, v96                                // 000000006594: 0AC0C114
	v_mul_f32_e32 v97, v20, v97                                // 000000006598: 0AC2C314
	v_mul_f32_e32 v98, v20, v98                                // 00000000659C: 0AC4C514
	v_mul_f32_e32 v99, v20, v99                                // 0000000065A0: 0AC6C714
	v_mul_f32_e32 v100, v20, v100                              // 0000000065A4: 0AC8C914
	v_mul_f32_e32 v101, v20, v101                              // 0000000065A8: 0ACACB14
	v_mul_f32_e32 v102, v20, v102                              // 0000000065AC: 0ACCCD14
	v_mul_f32_e32 v103, v20, v103                              // 0000000065B0: 0ACECF14
	v_mul_f32_e32 v104, v20, v104                              // 0000000065B4: 0AD0D114
	v_mul_f32_e32 v105, v20, v105                              // 0000000065B8: 0AD2D314
	v_mul_f32_e32 v106, v20, v106                              // 0000000065BC: 0AD4D514
	v_mul_f32_e32 v107, v20, v107                              // 0000000065C0: 0AD6D714
	v_mul_f32_e32 v108, v20, v108                              // 0000000065C4: 0AD8D914
	v_mul_f32_e32 v109, v20, v109                              // 0000000065C8: 0ADADB14
	v_mul_f32_e32 v110, v20, v110                              // 0000000065CC: 0ADCDD14
	v_mul_f32_e32 v111, v20, v111                              // 0000000065D0: 0ADEDF14
	v_mul_f32_e32 v112, v20, v112                              // 0000000065D4: 0AE0E114
	v_mul_f32_e32 v113, v20, v113                              // 0000000065D8: 0AE2E314
	v_mul_f32_e32 v114, v20, v114                              // 0000000065DC: 0AE4E514
	v_mul_f32_e32 v115, v20, v115                              // 0000000065E0: 0AE6E714
	v_mul_f32_e32 v116, v20, v116                              // 0000000065E4: 0AE8E914
	v_mul_f32_e32 v117, v20, v117                              // 0000000065E8: 0AEAEB14
	v_mul_f32_e32 v118, v20, v118                              // 0000000065EC: 0AECED14
	v_mul_f32_e32 v119, v20, v119                              // 0000000065F0: 0AEEEF14
	v_mul_f32_e32 v120, v20, v120                              // 0000000065F4: 0AF0F114
	v_mul_f32_e32 v121, v20, v121                              // 0000000065F8: 0AF2F314
	v_mul_f32_e32 v122, v20, v122                              // 0000000065FC: 0AF4F514
	v_mul_f32_e32 v123, v20, v123                              // 000000006600: 0AF6F714
	v_mul_f32_e32 v124, v20, v124                              // 000000006604: 0AF8F914
	v_mul_f32_e32 v125, v20, v125                              // 000000006608: 0AFAFB14
	v_mul_f32_e32 v126, v20, v126                              // 00000000660C: 0AFCFD14
	v_mul_f32_e32 v127, v20, v127                              // 000000006610: 0AFEFF14
	v_mul_f32_e32 v128, v20, v128                              // 000000006614: 0B010114
	v_mul_f32_e32 v129, v20, v129                              // 000000006618: 0B030314
	v_mul_f32_e32 v130, v20, v130                              // 00000000661C: 0B050514
	v_mul_f32_e32 v131, v20, v131                              // 000000006620: 0B070714
	v_mul_f32_e32 v132, v20, v132                              // 000000006624: 0B090914
	v_mul_f32_e32 v133, v20, v133                              // 000000006628: 0B0B0B14
	v_mul_f32_e32 v134, v20, v134                              // 00000000662C: 0B0D0D14
	v_mul_f32_e32 v135, v20, v135                              // 000000006630: 0B0F0F14
	v_mul_f32_e32 v136, v20, v136                              // 000000006634: 0B111114
	v_mul_f32_e32 v137, v20, v137                              // 000000006638: 0B131314
	v_mul_f32_e32 v138, v20, v138                              // 00000000663C: 0B151514
	v_mul_f32_e32 v139, v20, v139                              // 000000006640: 0B171714
	v_mul_f32_e32 v140, v20, v140                              // 000000006644: 0B191914
	v_mul_f32_e32 v141, v20, v141                              // 000000006648: 0B1B1B14
	v_mul_f32_e32 v142, v20, v142                              // 00000000664C: 0B1D1D14
	v_mul_f32_e32 v143, v20, v143                              // 000000006650: 0B1F1F14
	v_mul_f32_e32 v144, v20, v144                              // 000000006654: 0B212114
	v_mul_f32_e32 v145, v20, v145                              // 000000006658: 0B232314
	v_mul_f32_e32 v146, v20, v146                              // 00000000665C: 0B252514
	v_mul_f32_e32 v147, v20, v147                              // 000000006660: 0B272714
	v_mul_f32_e32 v148, v20, v148                              // 000000006664: 0B292914
	v_mul_f32_e32 v149, v20, v149                              // 000000006668: 0B2B2B14
	v_mul_f32_e32 v150, v20, v150                              // 00000000666C: 0B2D2D14
	v_mul_f32_e32 v151, v20, v151                              // 000000006670: 0B2F2F14
	v_mul_f32_e32 v152, v20, v152                              // 000000006674: 0B313114
	v_mul_f32_e32 v153, v20, v153                              // 000000006678: 0B333314
	v_mul_f32_e32 v154, v20, v154                              // 00000000667C: 0B353514
	v_mul_f32_e32 v155, v20, v155                              // 000000006680: 0B373714
	v_mul_f32_e32 v156, v20, v156                              // 000000006684: 0B393914
	v_mul_f32_e32 v157, v20, v157                              // 000000006688: 0B3B3B14
	v_mul_f32_e32 v158, v20, v158                              // 00000000668C: 0B3D3D14
	v_mul_f32_e32 v159, v20, v159                              // 000000006690: 0B3F3F14
	v_cmp_u_f32_e64 s[70:71], v80, v80                         // 000000006694: D0480046 0002A150
	v_bfe_u32 v40, v80, 16, 1                                  // 00000000669C: D1C80028 02052150
	v_add3_u32 v40, v80, v40, v43                              // 0000000066A4: D1FF0028 04AE5150
	v_cndmask_b32_e64 v16, v40, v42, s[70:71]                  // 0000000066AC: D1000010 011A5528
	v_lshrrev_b32_e32 v16, 16, v16                             // 0000000066B4: 20202090
	v_cmp_u_f32_e64 s[70:71], v81, v81                         // 0000000066B8: D0480046 0002A351
	v_bfe_u32 v40, v81, 16, 1                                  // 0000000066C0: D1C80028 02052151
	v_add3_u32 v40, v81, v40, v43                              // 0000000066C8: D1FF0028 04AE5151
	v_cndmask_b32_e64 v17, v40, v42, s[70:71]                  // 0000000066D0: D1000011 011A5528
	v_and_or_b32 v80, v17, v41, v16                            // 0000000066D8: D2010050 04425311
	v_cmp_u_f32_e64 s[70:71], v82, v82                         // 0000000066E0: D0480046 0002A552
	v_bfe_u32 v40, v82, 16, 1                                  // 0000000066E8: D1C80028 02052152
	v_add3_u32 v40, v82, v40, v43                              // 0000000066F0: D1FF0028 04AE5152
	v_cndmask_b32_e64 v16, v40, v42, s[70:71]                  // 0000000066F8: D1000010 011A5528
	v_lshrrev_b32_e32 v16, 16, v16                             // 000000006700: 20202090
	v_cmp_u_f32_e64 s[70:71], v83, v83                         // 000000006704: D0480046 0002A753
	v_bfe_u32 v40, v83, 16, 1                                  // 00000000670C: D1C80028 02052153
	v_add3_u32 v40, v83, v40, v43                              // 000000006714: D1FF0028 04AE5153
	v_cndmask_b32_e64 v17, v40, v42, s[70:71]                  // 00000000671C: D1000011 011A5528
	v_and_or_b32 v81, v17, v41, v16                            // 000000006724: D2010051 04425311
	v_cmp_u_f32_e64 s[70:71], v84, v84                         // 00000000672C: D0480046 0002A954
	v_bfe_u32 v40, v84, 16, 1                                  // 000000006734: D1C80028 02052154
	v_add3_u32 v40, v84, v40, v43                              // 00000000673C: D1FF0028 04AE5154
	v_cndmask_b32_e64 v16, v40, v42, s[70:71]                  // 000000006744: D1000010 011A5528
	v_lshrrev_b32_e32 v16, 16, v16                             // 00000000674C: 20202090
	v_cmp_u_f32_e64 s[70:71], v85, v85                         // 000000006750: D0480046 0002AB55
	v_bfe_u32 v40, v85, 16, 1                                  // 000000006758: D1C80028 02052155
	v_add3_u32 v40, v85, v40, v43                              // 000000006760: D1FF0028 04AE5155
	v_cndmask_b32_e64 v17, v40, v42, s[70:71]                  // 000000006768: D1000011 011A5528
	v_and_or_b32 v82, v17, v41, v16                            // 000000006770: D2010052 04425311
	v_cmp_u_f32_e64 s[70:71], v86, v86                         // 000000006778: D0480046 0002AD56
	v_bfe_u32 v40, v86, 16, 1                                  // 000000006780: D1C80028 02052156
	v_add3_u32 v40, v86, v40, v43                              // 000000006788: D1FF0028 04AE5156
	v_cndmask_b32_e64 v16, v40, v42, s[70:71]                  // 000000006790: D1000010 011A5528
	v_lshrrev_b32_e32 v16, 16, v16                             // 000000006798: 20202090
	v_cmp_u_f32_e64 s[70:71], v87, v87                         // 00000000679C: D0480046 0002AF57
	v_bfe_u32 v40, v87, 16, 1                                  // 0000000067A4: D1C80028 02052157
	v_add3_u32 v40, v87, v40, v43                              // 0000000067AC: D1FF0028 04AE5157
	v_cndmask_b32_e64 v17, v40, v42, s[70:71]                  // 0000000067B4: D1000011 011A5528
	v_and_or_b32 v83, v17, v41, v16                            // 0000000067BC: D2010053 04425311
	v_cmp_u_f32_e64 s[70:71], v88, v88                         // 0000000067C4: D0480046 0002B158
	v_bfe_u32 v40, v88, 16, 1                                  // 0000000067CC: D1C80028 02052158
	v_add3_u32 v40, v88, v40, v43                              // 0000000067D4: D1FF0028 04AE5158
	v_cndmask_b32_e64 v16, v40, v42, s[70:71]                  // 0000000067DC: D1000010 011A5528
	v_lshrrev_b32_e32 v16, 16, v16                             // 0000000067E4: 20202090
	v_cmp_u_f32_e64 s[70:71], v89, v89                         // 0000000067E8: D0480046 0002B359
	v_bfe_u32 v40, v89, 16, 1                                  // 0000000067F0: D1C80028 02052159
	v_add3_u32 v40, v89, v40, v43                              // 0000000067F8: D1FF0028 04AE5159
	v_cndmask_b32_e64 v17, v40, v42, s[70:71]                  // 000000006800: D1000011 011A5528
	v_and_or_b32 v84, v17, v41, v16                            // 000000006808: D2010054 04425311
	v_cmp_u_f32_e64 s[70:71], v90, v90                         // 000000006810: D0480046 0002B55A
	v_bfe_u32 v40, v90, 16, 1                                  // 000000006818: D1C80028 0205215A
	v_add3_u32 v40, v90, v40, v43                              // 000000006820: D1FF0028 04AE515A
	v_cndmask_b32_e64 v16, v40, v42, s[70:71]                  // 000000006828: D1000010 011A5528
	v_lshrrev_b32_e32 v16, 16, v16                             // 000000006830: 20202090
	v_cmp_u_f32_e64 s[70:71], v91, v91                         // 000000006834: D0480046 0002B75B
	v_bfe_u32 v40, v91, 16, 1                                  // 00000000683C: D1C80028 0205215B
	v_add3_u32 v40, v91, v40, v43                              // 000000006844: D1FF0028 04AE515B
	v_cndmask_b32_e64 v17, v40, v42, s[70:71]                  // 00000000684C: D1000011 011A5528
	v_and_or_b32 v85, v17, v41, v16                            // 000000006854: D2010055 04425311
	v_cmp_u_f32_e64 s[70:71], v92, v92                         // 00000000685C: D0480046 0002B95C
	v_bfe_u32 v40, v92, 16, 1                                  // 000000006864: D1C80028 0205215C
	v_add3_u32 v40, v92, v40, v43                              // 00000000686C: D1FF0028 04AE515C
	v_cndmask_b32_e64 v16, v40, v42, s[70:71]                  // 000000006874: D1000010 011A5528
	v_lshrrev_b32_e32 v16, 16, v16                             // 00000000687C: 20202090
	v_cmp_u_f32_e64 s[70:71], v93, v93                         // 000000006880: D0480046 0002BB5D
	v_bfe_u32 v40, v93, 16, 1                                  // 000000006888: D1C80028 0205215D
	v_add3_u32 v40, v93, v40, v43                              // 000000006890: D1FF0028 04AE515D
	v_cndmask_b32_e64 v17, v40, v42, s[70:71]                  // 000000006898: D1000011 011A5528
	v_and_or_b32 v86, v17, v41, v16                            // 0000000068A0: D2010056 04425311
	v_cmp_u_f32_e64 s[70:71], v94, v94                         // 0000000068A8: D0480046 0002BD5E
	v_bfe_u32 v40, v94, 16, 1                                  // 0000000068B0: D1C80028 0205215E
	v_add3_u32 v40, v94, v40, v43                              // 0000000068B8: D1FF0028 04AE515E
	v_cndmask_b32_e64 v16, v40, v42, s[70:71]                  // 0000000068C0: D1000010 011A5528
	v_lshrrev_b32_e32 v16, 16, v16                             // 0000000068C8: 20202090
	v_cmp_u_f32_e64 s[70:71], v95, v95                         // 0000000068CC: D0480046 0002BF5F
	v_bfe_u32 v40, v95, 16, 1                                  // 0000000068D4: D1C80028 0205215F
	v_add3_u32 v40, v95, v40, v43                              // 0000000068DC: D1FF0028 04AE515F
	v_cndmask_b32_e64 v17, v40, v42, s[70:71]                  // 0000000068E4: D1000011 011A5528
	v_and_or_b32 v87, v17, v41, v16                            // 0000000068EC: D2010057 04425311
	s_waitcnt lgkmcnt(0)                                       // 0000000068F4: BF8CC07F
	v_mfma_f32_32x32x8_bf16 v[96:111], v[192:193], v[80:81], v[96:111]// 0000000068F8: D3E00060 0582A1C0
	v_mfma_f32_32x32x8_bf16 v[96:111], v[194:195], v[82:83], v[96:111]// 000000006900: D3E00060 0582A5C2
	v_mfma_f32_32x32x8_bf16 v[96:111], v[196:197], v[84:85], v[96:111]// 000000006908: D3E00060 0582A9C4
	v_mfma_f32_32x32x8_bf16 v[96:111], v[198:199], v[86:87], v[96:111]// 000000006910: D3E00060 0582ADC6
	v_mfma_f32_32x32x8_bf16 v[112:127], v[200:201], v[80:81], v[112:127]// 000000006918: D3E00070 05C2A1C8
	v_mfma_f32_32x32x8_bf16 v[112:127], v[202:203], v[82:83], v[112:127]// 000000006920: D3E00070 05C2A5CA
	v_mfma_f32_32x32x8_bf16 v[112:127], v[204:205], v[84:85], v[112:127]// 000000006928: D3E00070 05C2A9CC
	v_mfma_f32_32x32x8_bf16 v[112:127], v[206:207], v[86:87], v[112:127]// 000000006930: D3E00070 05C2ADCE
	v_mfma_f32_32x32x8_bf16 v[128:143], v[208:209], v[80:81], v[128:143]// 000000006938: D3E00080 0602A1D0
	v_mfma_f32_32x32x8_bf16 v[128:143], v[210:211], v[82:83], v[128:143]// 000000006940: D3E00080 0602A5D2
	v_mfma_f32_32x32x8_bf16 v[128:143], v[212:213], v[84:85], v[128:143]// 000000006948: D3E00080 0602A9D4
	v_mfma_f32_32x32x8_bf16 v[128:143], v[214:215], v[86:87], v[128:143]// 000000006950: D3E00080 0602ADD6
	v_mfma_f32_32x32x8_bf16 v[144:159], v[216:217], v[80:81], v[144:159]// 000000006958: D3E00090 0642A1D8
	v_mfma_f32_32x32x8_bf16 v[144:159], v[218:219], v[82:83], v[144:159]// 000000006960: D3E00090 0642A5DA
	v_mfma_f32_32x32x8_bf16 v[144:159], v[220:221], v[84:85], v[144:159]// 000000006968: D3E00090 0642A9DC
	v_mfma_f32_32x32x8_bf16 v[144:159], v[222:223], v[86:87], v[144:159]// 000000006970: D3E00090 0642ADDE
	s_branch label_0EDA                                        // 000000006978: BF82013B

000000000000697c <label_0D9F>:
	s_waitcnt vmcnt(4)                                         // 00000000697C: BF8C0F74
	s_barrier                                                  // 000000006980: BF8A0000
	v_perm_b32 v232, v225, v224, s50                           // 000000006984: D1ED00E8 00CBC1E1
	v_perm_b32 v234, v225, v224, s49                           // 00000000698C: D1ED00EA 00C7C1E1
	v_perm_b32 v233, v227, v226, s50                           // 000000006994: D1ED00E9 00CBC5E3
	v_perm_b32 v235, v227, v226, s49                           // 00000000699C: D1ED00EB 00C7C5E3
	ds_write_b64 v14, v[232:233] offset:17408                  // 0000000069A4: D89A4400 0000E80E
	ds_write_b64 v14, v[234:235] offset:21568                  // 0000000069AC: D89A5440 0000EA0E
	s_waitcnt lgkmcnt(0)                                       // 0000000069B4: BF8CC07F
	s_barrier                                                  // 0000000069B8: BF8A0000
	ds_read_b64 v[192:193], v13 offset:17408                   // 0000000069BC: D8EC4400 C000000D
	ds_read_b64 v[194:195], v13 offset:18432                   // 0000000069C4: D8EC4800 C200000D
	ds_read_b64 v[196:197], v13 offset:19456                   // 0000000069CC: D8EC4C00 C400000D
	ds_read_b64 v[198:199], v13 offset:20480                   // 0000000069D4: D8EC5000 C600000D
	ds_read_b64 v[200:201], v13 offset:17536                   // 0000000069DC: D8EC4480 C800000D
	ds_read_b64 v[202:203], v13 offset:18560                   // 0000000069E4: D8EC4880 CA00000D
	ds_read_b64 v[204:205], v13 offset:19584                   // 0000000069EC: D8EC4C80 CC00000D
	ds_read_b64 v[206:207], v13 offset:20608                   // 0000000069F4: D8EC5080 CE00000D
	ds_read_b64 v[208:209], v13 offset:17664                   // 0000000069FC: D8EC4500 D000000D
	ds_read_b64 v[210:211], v13 offset:18688                   // 000000006A04: D8EC4900 D200000D
	ds_read_b64 v[212:213], v13 offset:19712                   // 000000006A0C: D8EC4D00 D400000D
	ds_read_b64 v[214:215], v13 offset:20736                   // 000000006A14: D8EC5100 D600000D
	ds_read_b64 v[216:217], v13 offset:17792                   // 000000006A1C: D8EC4580 D800000D
	ds_read_b64 v[218:219], v13 offset:18816                   // 000000006A24: D8EC4980 DA00000D
	ds_read_b64 v[220:221], v13 offset:19840                   // 000000006A2C: D8EC4D80 DC00000D
	ds_read_b64 v[222:223], v13 offset:20864                   // 000000006A34: D8EC5180 DE00000D
	v_exp_f32_e32 v79, v79                                     // 000000006A3C: 7E9E414F
	v_mul_f32_e32 v22, v20, v22                                // 000000006A40: 0A2C2D14
	v_add_f32_e32 v38, v65, v64                                // 000000006A44: 024C8141
	v_add_f32_e32 v38, v66, v38                                // 000000006A48: 024C4D42
	v_add_f32_e32 v38, v67, v38                                // 000000006A4C: 024C4D43
	v_add_f32_e32 v38, v68, v38                                // 000000006A50: 024C4D44
	v_add_f32_e32 v38, v69, v38                                // 000000006A54: 024C4D45
	v_add_f32_e32 v38, v70, v38                                // 000000006A58: 024C4D46
	v_add_f32_e32 v38, v71, v38                                // 000000006A5C: 024C4D47
	v_add_f32_e32 v38, v72, v38                                // 000000006A60: 024C4D48
	v_add_f32_e32 v38, v73, v38                                // 000000006A64: 024C4D49
	v_add_f32_e32 v38, v74, v38                                // 000000006A68: 024C4D4A
	v_add_f32_e32 v38, v75, v38                                // 000000006A6C: 024C4D4B
	v_add_f32_e32 v38, v76, v38                                // 000000006A70: 024C4D4C
	v_add_f32_e32 v38, v77, v38                                // 000000006A74: 024C4D4D
	v_add_f32_e32 v38, v78, v38                                // 000000006A78: 024C4D4E
	v_add_f32_e32 v38, v79, v38                                // 000000006A7C: 024C4D4F
	v_add_f32_e32 v22, v38, v22                                // 000000006A80: 022C2D26
	v_mul_f32_e32 v96, v20, v96                                // 000000006A84: 0AC0C114
	v_mul_f32_e32 v97, v20, v97                                // 000000006A88: 0AC2C314
	v_mul_f32_e32 v98, v20, v98                                // 000000006A8C: 0AC4C514
	v_mul_f32_e32 v99, v20, v99                                // 000000006A90: 0AC6C714
	v_mul_f32_e32 v100, v20, v100                              // 000000006A94: 0AC8C914
	v_mul_f32_e32 v101, v20, v101                              // 000000006A98: 0ACACB14
	v_mul_f32_e32 v102, v20, v102                              // 000000006A9C: 0ACCCD14
	v_mul_f32_e32 v103, v20, v103                              // 000000006AA0: 0ACECF14
	v_mul_f32_e32 v104, v20, v104                              // 000000006AA4: 0AD0D114
	v_mul_f32_e32 v105, v20, v105                              // 000000006AA8: 0AD2D314
	v_mul_f32_e32 v106, v20, v106                              // 000000006AAC: 0AD4D514
	v_mul_f32_e32 v107, v20, v107                              // 000000006AB0: 0AD6D714
	v_mul_f32_e32 v108, v20, v108                              // 000000006AB4: 0AD8D914
	v_mul_f32_e32 v109, v20, v109                              // 000000006AB8: 0ADADB14
	v_mul_f32_e32 v110, v20, v110                              // 000000006ABC: 0ADCDD14
	v_mul_f32_e32 v111, v20, v111                              // 000000006AC0: 0ADEDF14
	v_mul_f32_e32 v112, v20, v112                              // 000000006AC4: 0AE0E114
	v_mul_f32_e32 v113, v20, v113                              // 000000006AC8: 0AE2E314
	v_mul_f32_e32 v114, v20, v114                              // 000000006ACC: 0AE4E514
	v_mul_f32_e32 v115, v20, v115                              // 000000006AD0: 0AE6E714
	v_mul_f32_e32 v116, v20, v116                              // 000000006AD4: 0AE8E914
	v_mul_f32_e32 v117, v20, v117                              // 000000006AD8: 0AEAEB14
	v_mul_f32_e32 v118, v20, v118                              // 000000006ADC: 0AECED14
	v_mul_f32_e32 v119, v20, v119                              // 000000006AE0: 0AEEEF14
	v_mul_f32_e32 v120, v20, v120                              // 000000006AE4: 0AF0F114
	v_mul_f32_e32 v121, v20, v121                              // 000000006AE8: 0AF2F314
	v_mul_f32_e32 v122, v20, v122                              // 000000006AEC: 0AF4F514
	v_mul_f32_e32 v123, v20, v123                              // 000000006AF0: 0AF6F714
	v_mul_f32_e32 v124, v20, v124                              // 000000006AF4: 0AF8F914
	v_mul_f32_e32 v125, v20, v125                              // 000000006AF8: 0AFAFB14
	v_mul_f32_e32 v126, v20, v126                              // 000000006AFC: 0AFCFD14
	v_mul_f32_e32 v127, v20, v127                              // 000000006B00: 0AFEFF14
	v_mul_f32_e32 v128, v20, v128                              // 000000006B04: 0B010114
	v_mul_f32_e32 v129, v20, v129                              // 000000006B08: 0B030314
	v_mul_f32_e32 v130, v20, v130                              // 000000006B0C: 0B050514
	v_mul_f32_e32 v131, v20, v131                              // 000000006B10: 0B070714
	v_mul_f32_e32 v132, v20, v132                              // 000000006B14: 0B090914
	v_mul_f32_e32 v133, v20, v133                              // 000000006B18: 0B0B0B14
	v_mul_f32_e32 v134, v20, v134                              // 000000006B1C: 0B0D0D14
	v_mul_f32_e32 v135, v20, v135                              // 000000006B20: 0B0F0F14
	v_mul_f32_e32 v136, v20, v136                              // 000000006B24: 0B111114
	v_mul_f32_e32 v137, v20, v137                              // 000000006B28: 0B131314
	v_mul_f32_e32 v138, v20, v138                              // 000000006B2C: 0B151514
	v_mul_f32_e32 v139, v20, v139                              // 000000006B30: 0B171714
	v_mul_f32_e32 v140, v20, v140                              // 000000006B34: 0B191914
	v_mul_f32_e32 v141, v20, v141                              // 000000006B38: 0B1B1B14
	v_mul_f32_e32 v142, v20, v142                              // 000000006B3C: 0B1D1D14
	v_mul_f32_e32 v143, v20, v143                              // 000000006B40: 0B1F1F14
	v_mul_f32_e32 v144, v20, v144                              // 000000006B44: 0B212114
	v_mul_f32_e32 v145, v20, v145                              // 000000006B48: 0B232314
	v_mul_f32_e32 v146, v20, v146                              // 000000006B4C: 0B252514
	v_mul_f32_e32 v147, v20, v147                              // 000000006B50: 0B272714
	v_mul_f32_e32 v148, v20, v148                              // 000000006B54: 0B292914
	v_mul_f32_e32 v149, v20, v149                              // 000000006B58: 0B2B2B14
	v_mul_f32_e32 v150, v20, v150                              // 000000006B5C: 0B2D2D14
	v_mul_f32_e32 v151, v20, v151                              // 000000006B60: 0B2F2F14
	v_mul_f32_e32 v152, v20, v152                              // 000000006B64: 0B313114
	v_mul_f32_e32 v153, v20, v153                              // 000000006B68: 0B333314
	v_mul_f32_e32 v154, v20, v154                              // 000000006B6C: 0B353514
	v_mul_f32_e32 v155, v20, v155                              // 000000006B70: 0B373714
	v_mul_f32_e32 v156, v20, v156                              // 000000006B74: 0B393914
	v_mul_f32_e32 v157, v20, v157                              // 000000006B78: 0B3B3B14
	v_mul_f32_e32 v158, v20, v158                              // 000000006B7C: 0B3D3D14
	v_mul_f32_e32 v159, v20, v159                              // 000000006B80: 0B3F3F14
	v_cmp_u_f32_e64 s[70:71], v64, v64                         // 000000006B84: D0480046 00028140
	v_bfe_u32 v40, v64, 16, 1                                  // 000000006B8C: D1C80028 02052140
	v_add3_u32 v40, v64, v40, v43                              // 000000006B94: D1FF0028 04AE5140
	v_cndmask_b32_e64 v16, v40, v42, s[70:71]                  // 000000006B9C: D1000010 011A5528
	v_lshrrev_b32_e32 v16, 16, v16                             // 000000006BA4: 20202090
	v_cmp_u_f32_e64 s[70:71], v65, v65                         // 000000006BA8: D0480046 00028341
	v_bfe_u32 v40, v65, 16, 1                                  // 000000006BB0: D1C80028 02052141
	v_add3_u32 v40, v65, v40, v43                              // 000000006BB8: D1FF0028 04AE5141
	v_cndmask_b32_e64 v17, v40, v42, s[70:71]                  // 000000006BC0: D1000011 011A5528
	v_and_or_b32 v64, v17, v41, v16                            // 000000006BC8: D2010040 04425311
	v_cmp_u_f32_e64 s[70:71], v66, v66                         // 000000006BD0: D0480046 00028542
	v_bfe_u32 v40, v66, 16, 1                                  // 000000006BD8: D1C80028 02052142
	v_add3_u32 v40, v66, v40, v43                              // 000000006BE0: D1FF0028 04AE5142
	v_cndmask_b32_e64 v16, v40, v42, s[70:71]                  // 000000006BE8: D1000010 011A5528
	v_lshrrev_b32_e32 v16, 16, v16                             // 000000006BF0: 20202090
	v_cmp_u_f32_e64 s[70:71], v67, v67                         // 000000006BF4: D0480046 00028743
	v_bfe_u32 v40, v67, 16, 1                                  // 000000006BFC: D1C80028 02052143
	v_add3_u32 v40, v67, v40, v43                              // 000000006C04: D1FF0028 04AE5143
	v_cndmask_b32_e64 v17, v40, v42, s[70:71]                  // 000000006C0C: D1000011 011A5528
	v_and_or_b32 v65, v17, v41, v16                            // 000000006C14: D2010041 04425311
	v_cmp_u_f32_e64 s[70:71], v68, v68                         // 000000006C1C: D0480046 00028944
	v_bfe_u32 v40, v68, 16, 1                                  // 000000006C24: D1C80028 02052144
	v_add3_u32 v40, v68, v40, v43                              // 000000006C2C: D1FF0028 04AE5144
	v_cndmask_b32_e64 v16, v40, v42, s[70:71]                  // 000000006C34: D1000010 011A5528
	v_lshrrev_b32_e32 v16, 16, v16                             // 000000006C3C: 20202090
	v_cmp_u_f32_e64 s[70:71], v69, v69                         // 000000006C40: D0480046 00028B45
	v_bfe_u32 v40, v69, 16, 1                                  // 000000006C48: D1C80028 02052145
	v_add3_u32 v40, v69, v40, v43                              // 000000006C50: D1FF0028 04AE5145
	v_cndmask_b32_e64 v17, v40, v42, s[70:71]                  // 000000006C58: D1000011 011A5528
	v_and_or_b32 v66, v17, v41, v16                            // 000000006C60: D2010042 04425311
	v_cmp_u_f32_e64 s[70:71], v70, v70                         // 000000006C68: D0480046 00028D46
	v_bfe_u32 v40, v70, 16, 1                                  // 000000006C70: D1C80028 02052146
	v_add3_u32 v40, v70, v40, v43                              // 000000006C78: D1FF0028 04AE5146
	v_cndmask_b32_e64 v16, v40, v42, s[70:71]                  // 000000006C80: D1000010 011A5528
	v_lshrrev_b32_e32 v16, 16, v16                             // 000000006C88: 20202090
	v_cmp_u_f32_e64 s[70:71], v71, v71                         // 000000006C8C: D0480046 00028F47
	v_bfe_u32 v40, v71, 16, 1                                  // 000000006C94: D1C80028 02052147
	v_add3_u32 v40, v71, v40, v43                              // 000000006C9C: D1FF0028 04AE5147
	v_cndmask_b32_e64 v17, v40, v42, s[70:71]                  // 000000006CA4: D1000011 011A5528
	v_and_or_b32 v67, v17, v41, v16                            // 000000006CAC: D2010043 04425311
	v_cmp_u_f32_e64 s[70:71], v72, v72                         // 000000006CB4: D0480046 00029148
	v_bfe_u32 v40, v72, 16, 1                                  // 000000006CBC: D1C80028 02052148
	v_add3_u32 v40, v72, v40, v43                              // 000000006CC4: D1FF0028 04AE5148
	v_cndmask_b32_e64 v16, v40, v42, s[70:71]                  // 000000006CCC: D1000010 011A5528
	v_lshrrev_b32_e32 v16, 16, v16                             // 000000006CD4: 20202090
	v_cmp_u_f32_e64 s[70:71], v73, v73                         // 000000006CD8: D0480046 00029349
	v_bfe_u32 v40, v73, 16, 1                                  // 000000006CE0: D1C80028 02052149
	v_add3_u32 v40, v73, v40, v43                              // 000000006CE8: D1FF0028 04AE5149
	v_cndmask_b32_e64 v17, v40, v42, s[70:71]                  // 000000006CF0: D1000011 011A5528
	v_and_or_b32 v68, v17, v41, v16                            // 000000006CF8: D2010044 04425311
	v_cmp_u_f32_e64 s[70:71], v74, v74                         // 000000006D00: D0480046 0002954A
	v_bfe_u32 v40, v74, 16, 1                                  // 000000006D08: D1C80028 0205214A
	v_add3_u32 v40, v74, v40, v43                              // 000000006D10: D1FF0028 04AE514A
	v_cndmask_b32_e64 v16, v40, v42, s[70:71]                  // 000000006D18: D1000010 011A5528
	v_lshrrev_b32_e32 v16, 16, v16                             // 000000006D20: 20202090
	v_cmp_u_f32_e64 s[70:71], v75, v75                         // 000000006D24: D0480046 0002974B
	v_bfe_u32 v40, v75, 16, 1                                  // 000000006D2C: D1C80028 0205214B
	v_add3_u32 v40, v75, v40, v43                              // 000000006D34: D1FF0028 04AE514B
	v_cndmask_b32_e64 v17, v40, v42, s[70:71]                  // 000000006D3C: D1000011 011A5528
	v_and_or_b32 v69, v17, v41, v16                            // 000000006D44: D2010045 04425311
	v_cmp_u_f32_e64 s[70:71], v76, v76                         // 000000006D4C: D0480046 0002994C
	v_bfe_u32 v40, v76, 16, 1                                  // 000000006D54: D1C80028 0205214C
	v_add3_u32 v40, v76, v40, v43                              // 000000006D5C: D1FF0028 04AE514C
	v_cndmask_b32_e64 v16, v40, v42, s[70:71]                  // 000000006D64: D1000010 011A5528
	v_lshrrev_b32_e32 v16, 16, v16                             // 000000006D6C: 20202090
	v_cmp_u_f32_e64 s[70:71], v77, v77                         // 000000006D70: D0480046 00029B4D
	v_bfe_u32 v40, v77, 16, 1                                  // 000000006D78: D1C80028 0205214D
	v_add3_u32 v40, v77, v40, v43                              // 000000006D80: D1FF0028 04AE514D
	v_cndmask_b32_e64 v17, v40, v42, s[70:71]                  // 000000006D88: D1000011 011A5528
	v_and_or_b32 v70, v17, v41, v16                            // 000000006D90: D2010046 04425311
	v_cmp_u_f32_e64 s[70:71], v78, v78                         // 000000006D98: D0480046 00029D4E
	v_bfe_u32 v40, v78, 16, 1                                  // 000000006DA0: D1C80028 0205214E
	v_add3_u32 v40, v78, v40, v43                              // 000000006DA8: D1FF0028 04AE514E
	v_cndmask_b32_e64 v16, v40, v42, s[70:71]                  // 000000006DB0: D1000010 011A5528
	v_lshrrev_b32_e32 v16, 16, v16                             // 000000006DB8: 20202090
	v_cmp_u_f32_e64 s[70:71], v79, v79                         // 000000006DBC: D0480046 00029F4F
	v_bfe_u32 v40, v79, 16, 1                                  // 000000006DC4: D1C80028 0205214F
	v_add3_u32 v40, v79, v40, v43                              // 000000006DCC: D1FF0028 04AE514F
	v_cndmask_b32_e64 v17, v40, v42, s[70:71]                  // 000000006DD4: D1000011 011A5528
	v_and_or_b32 v71, v17, v41, v16                            // 000000006DDC: D2010047 04425311
	s_waitcnt lgkmcnt(0)                                       // 000000006DE4: BF8CC07F
	v_mfma_f32_32x32x8_bf16 v[96:111], v[192:193], v[64:65], v[96:111]// 000000006DE8: D3E00060 058281C0
	v_mfma_f32_32x32x8_bf16 v[96:111], v[194:195], v[66:67], v[96:111]// 000000006DF0: D3E00060 058285C2
	v_mfma_f32_32x32x8_bf16 v[96:111], v[196:197], v[68:69], v[96:111]// 000000006DF8: D3E00060 058289C4
	v_mfma_f32_32x32x8_bf16 v[96:111], v[198:199], v[70:71], v[96:111]// 000000006E00: D3E00060 05828DC6
	v_mfma_f32_32x32x8_bf16 v[112:127], v[200:201], v[64:65], v[112:127]// 000000006E08: D3E00070 05C281C8
	v_mfma_f32_32x32x8_bf16 v[112:127], v[202:203], v[66:67], v[112:127]// 000000006E10: D3E00070 05C285CA
	v_mfma_f32_32x32x8_bf16 v[112:127], v[204:205], v[68:69], v[112:127]// 000000006E18: D3E00070 05C289CC
	v_mfma_f32_32x32x8_bf16 v[112:127], v[206:207], v[70:71], v[112:127]// 000000006E20: D3E00070 05C28DCE
	v_mfma_f32_32x32x8_bf16 v[128:143], v[208:209], v[64:65], v[128:143]// 000000006E28: D3E00080 060281D0
	v_mfma_f32_32x32x8_bf16 v[128:143], v[210:211], v[66:67], v[128:143]// 000000006E30: D3E00080 060285D2
	v_mfma_f32_32x32x8_bf16 v[128:143], v[212:213], v[68:69], v[128:143]// 000000006E38: D3E00080 060289D4
	v_mfma_f32_32x32x8_bf16 v[128:143], v[214:215], v[70:71], v[128:143]// 000000006E40: D3E00080 06028DD6
	v_mfma_f32_32x32x8_bf16 v[144:159], v[216:217], v[64:65], v[144:159]// 000000006E48: D3E00090 064281D8
	v_mfma_f32_32x32x8_bf16 v[144:159], v[218:219], v[66:67], v[144:159]// 000000006E50: D3E00090 064285DA
	v_mfma_f32_32x32x8_bf16 v[144:159], v[220:221], v[68:69], v[144:159]// 000000006E58: D3E00090 064289DC
	v_mfma_f32_32x32x8_bf16 v[144:159], v[222:223], v[70:71], v[144:159]// 000000006E60: D3E00090 06428DDE

0000000000006e68 <label_0EDA>:
	v_cvt_f32_u32_e32 v16, s62                                 // 000000006E68: 7E200C3E
	s_sub_i32 s40, 0, s62                                      // 000000006E6C: 81A83E80
	v_rcp_iflag_f32_e32 v16, v16                               // 000000006E70: 7E204710
	s_nop 0                                                    // 000000006E74: BF800000
	v_mul_f32_e32 v16, 0x4f7ffffe, v16                         // 000000006E78: 0A2020FF 4F7FFFFE
	v_cvt_u32_f32_e32 v16, v16                                 // 000000006E80: 7E200F10
	v_mul_lo_u32 v17, s40, v16                                 // 000000006E84: D2850011 00022028
	v_mul_hi_u32 v17, v16, v17                                 // 000000006E8C: D2860011 00022310
	v_add_u32_e32 v16, v16, v17                                // 000000006E94: 68202310
	v_mul_hi_u32 v16, s63, v16                                 // 000000006E98: D2860010 0002203F
	v_mul_lo_u32 v17, v16, s62                                 // 000000006EA0: D2850011 00007D10
	v_sub_u32_e32 v19, s63, v17                                // 000000006EA8: 6A26223F
	v_add_u32_e32 v18, 1, v16                                  // 000000006EAC: 68242081
	v_cmp_le_u32_e32 vcc, s62, v19                             // 000000006EB0: 7D96263E
	v_subrev_u32_e32 v17, s62, v19                             // 000000006EB4: 6C22263E
	s_nop 0                                                    // 000000006EB8: BF800000
	v_cndmask_b32_e32 v16, v16, v18, vcc                       // 000000006EBC: 00202510
	v_cndmask_b32_e32 v19, v19, v17, vcc                       // 000000006EC0: 00262313
	v_add_u32_e32 v17, 1, v16                                  // 000000006EC4: 68222081
	v_cmp_le_u32_e32 vcc, s62, v19                             // 000000006EC8: 7D96263E
	s_nop 1                                                    // 000000006ECC: BF800001
	v_cndmask_b32_e32 v19, v16, v17, vcc                       // 000000006ED0: 00262310
	s_nop 3                                                    // 000000006ED4: BF800003
	v_readfirstlane_b32 s63, v19                               // 000000006ED8: 7E7E0513
	s_nop 3                                                    // 000000006EDC: BF800003
	s_mul_i32 s63, s63, s83                                    // 000000006EE0: 923F533F
	v_lshrrev_b32_e32 v16, 3, v0                               // 000000006EE4: 20200083
	v_mul_i32_i24_e32 v8, s83, v16                             // 000000006EE8: 0C102053
	v_and_b32_e32 v16, 7, v0                                   // 000000006EEC: 26200087
	v_mul_i32_i24_e32 v16, 16, v16                             // 000000006EF0: 0C202090
	v_add_u32_e32 v8, v16, v8                                  // 000000006EF4: 68101110
	s_mul_i32 s40, s5, s83                                     // 000000006EF8: 92285305
	s_mul_i32 s40, s40, 32                                     // 000000006EFC: 9228A028
	s_add_u32 s40, s63, s40                                    // 000000006F00: 8028283F
	v_add_u32_e32 v8, s40, v8                                  // 000000006F04: 68101028
	s_mul_i32 s40, s83, 8                                      // 000000006F08: 92288853
	v_add_u32_e32 v9, s40, v8                                  // 000000006F0C: 68121028
	v_add_u32_e32 v10, s40, v9                                 // 000000006F10: 68141228
	v_add_u32_e32 v11, s40, v10                                // 000000006F14: 68161428
	s_mul_i32 s40, s4, 0x100                                   // 000000006F18: 9228FF04 00000100
	v_and_b32_e32 v3, 31, v0                                   // 000000006F20: 2606009F
	v_add_u32_e32 v3, s40, v3                                  // 000000006F24: 68060628
	s_mul_i32 s40, s5, 32                                      // 000000006F28: 9228A005
	v_add_u32_e32 v3, s40, v3                                  // 000000006F2C: 68060628
	v_lshlrev_b32_e32 v3, 2, v3                                // 000000006F30: 24060682
	ds_permute_b32 v16, v32, v22                               // 000000006F34: D87C0000 10001620
	s_waitcnt lgkmcnt(0)                                       // 000000006F3C: BF8CC07F
	v_add_f32_e32 v22, v16, v22                                // 000000006F40: 022C2D10
	v_mul_f32_e64 v16, v28, s28                                // 000000006F44: D1050010 0000391C
	v_log_f32_e32 v17, v22                                     // 000000006F4C: 7E224316
	v_cmp_eq_f32_e64 s[40:41], v22, 0                          // 000000006F50: D0420028 00010116
	s_nop 1                                                    // 000000006F58: BF800001
	v_rcp_f32_e32 v22, v22                                     // 000000006F5C: 7E2C4516
	s_nop 1                                                    // 000000006F60: BF800001
	v_cndmask_b32_e64 v22, v22, 0, s[40:41]                    // 000000006F64: D1000016 00A10116
	v_fma_f32 v2, v17, s45, v16                                // 000000006F6C: D1CB0002 04405B11
	v_mov_b32_e32 v23, v22                                     // 000000006F74: 7E2E0316
	v_lshrrev_b32_e32 v16, 5, v0                               // 000000006F78: 20200085
	v_mul_i32_i24_e32 v35, 0x42, v16                           // 000000006F7C: 0C4620FF 00000042
	v_and_b32_e32 v16, 31, v0                                  // 000000006F84: 2620009F
	v_mul_i32_i24_e32 v16, 2, v16                              // 000000006F88: 0C202082
	v_add_u32_e32 v35, v16, v35                                // 000000006F8C: 68464710
	s_mul_i32 s40, s5, 0x420                                   // 000000006F90: 9228FF05 00000420
	v_add_u32_e32 v35, s40, v35                                // 000000006F98: 68464628
	v_lshlrev_b32_e32 v35, 2, v35                              // 000000006F9C: 24464682
	v_lshrrev_b32_e32 v16, 3, v0                               // 000000006FA0: 20200083
	v_mul_i32_i24_e32 v34, 2, v16                              // 000000006FA4: 0C442082
	v_and_b32_e32 v16, 7, v0                                   // 000000006FA8: 26200087
	v_mul_i32_i24_e32 v16, 0x84, v16                           // 000000006FAC: 0C2020FF 00000084
	v_add_u32_e32 v34, v16, v34                                // 000000006FB4: 68444510
	s_mul_i32 s40, s5, 0x420                                   // 000000006FB8: 9228FF05 00000420
	v_add_u32_e32 v34, s40, v34                                // 000000006FC0: 68444428
	v_lshlrev_b32_e32 v34, 2, v34                              // 000000006FC4: 24444482
	s_waitcnt vmcnt(0) expcnt(0) lgkmcnt(0)                    // 000000006FC8: BF8C0000
	s_barrier                                                  // 000000006FCC: BF8A0000
	v_pk_mul_f32 v[96:97], v[22:23], v[96:97]                  // 000000006FD0: D3B14060 1802C116
	v_pk_mul_f32 v[98:99], v[22:23], v[98:99]                  // 000000006FD8: D3B14062 1802C516
	v_pk_mul_f32 v[100:101], v[22:23], v[100:101]              // 000000006FE0: D3B14064 1802C916
	v_pk_mul_f32 v[102:103], v[22:23], v[102:103]              // 000000006FE8: D3B14066 1802CD16
	v_pk_mul_f32 v[104:105], v[22:23], v[104:105]              // 000000006FF0: D3B14068 1802D116
	v_pk_mul_f32 v[106:107], v[22:23], v[106:107]              // 000000006FF8: D3B1406A 1802D516
	v_pk_mul_f32 v[108:109], v[22:23], v[108:109]              // 000000007000: D3B1406C 1802D916
	v_pk_mul_f32 v[110:111], v[22:23], v[110:111]              // 000000007008: D3B1406E 1802DD16
	v_pk_mul_f32 v[112:113], v[22:23], v[112:113]              // 000000007010: D3B14070 1802E116
	v_pk_mul_f32 v[114:115], v[22:23], v[114:115]              // 000000007018: D3B14072 1802E516
	v_pk_mul_f32 v[116:117], v[22:23], v[116:117]              // 000000007020: D3B14074 1802E916
	v_pk_mul_f32 v[118:119], v[22:23], v[118:119]              // 000000007028: D3B14076 1802ED16
	v_pk_mul_f32 v[120:121], v[22:23], v[120:121]              // 000000007030: D3B14078 1802F116
	v_pk_mul_f32 v[122:123], v[22:23], v[122:123]              // 000000007038: D3B1407A 1802F516
	v_pk_mul_f32 v[124:125], v[22:23], v[124:125]              // 000000007040: D3B1407C 1802F916
	v_pk_mul_f32 v[126:127], v[22:23], v[126:127]              // 000000007048: D3B1407E 1802FD16
	v_cmp_u_f32_e64 s[70:71], v96, v96                         // 000000007050: D0480046 0002C160
	v_bfe_u32 v40, v96, 16, 1                                  // 000000007058: D1C80028 02052160
	v_add3_u32 v40, v96, v40, v43                              // 000000007060: D1FF0028 04AE5160
	v_cndmask_b32_e64 v16, v40, v42, s[70:71]                  // 000000007068: D1000010 011A5528
	v_lshrrev_b32_e32 v16, 16, v16                             // 000000007070: 20202090
	v_cmp_u_f32_e64 s[70:71], v97, v97                         // 000000007074: D0480046 0002C361
	v_bfe_u32 v40, v97, 16, 1                                  // 00000000707C: D1C80028 02052161
	v_add3_u32 v40, v97, v40, v43                              // 000000007084: D1FF0028 04AE5161
	v_cndmask_b32_e64 v17, v40, v42, s[70:71]                  // 00000000708C: D1000011 011A5528
	v_and_or_b32 v96, v17, v41, v16                            // 000000007094: D2010060 04425311
	v_cmp_u_f32_e64 s[70:71], v98, v98                         // 00000000709C: D0480046 0002C562
	v_bfe_u32 v40, v98, 16, 1                                  // 0000000070A4: D1C80028 02052162
	v_add3_u32 v40, v98, v40, v43                              // 0000000070AC: D1FF0028 04AE5162
	v_cndmask_b32_e64 v16, v40, v42, s[70:71]                  // 0000000070B4: D1000010 011A5528
	v_lshrrev_b32_e32 v16, 16, v16                             // 0000000070BC: 20202090
	v_cmp_u_f32_e64 s[70:71], v99, v99                         // 0000000070C0: D0480046 0002C763
	v_bfe_u32 v40, v99, 16, 1                                  // 0000000070C8: D1C80028 02052163
	v_add3_u32 v40, v99, v40, v43                              // 0000000070D0: D1FF0028 04AE5163
	v_cndmask_b32_e64 v17, v40, v42, s[70:71]                  // 0000000070D8: D1000011 011A5528
	v_and_or_b32 v97, v17, v41, v16                            // 0000000070E0: D2010061 04425311
	v_cmp_u_f32_e64 s[70:71], v100, v100                       // 0000000070E8: D0480046 0002C964
	v_bfe_u32 v40, v100, 16, 1                                 // 0000000070F0: D1C80028 02052164
	v_add3_u32 v40, v100, v40, v43                             // 0000000070F8: D1FF0028 04AE5164
	v_cndmask_b32_e64 v16, v40, v42, s[70:71]                  // 000000007100: D1000010 011A5528
	v_lshrrev_b32_e32 v16, 16, v16                             // 000000007108: 20202090
	v_cmp_u_f32_e64 s[70:71], v101, v101                       // 00000000710C: D0480046 0002CB65
	v_bfe_u32 v40, v101, 16, 1                                 // 000000007114: D1C80028 02052165
	v_add3_u32 v40, v101, v40, v43                             // 00000000711C: D1FF0028 04AE5165
	v_cndmask_b32_e64 v17, v40, v42, s[70:71]                  // 000000007124: D1000011 011A5528
	v_and_or_b32 v98, v17, v41, v16                            // 00000000712C: D2010062 04425311
	v_cmp_u_f32_e64 s[70:71], v102, v102                       // 000000007134: D0480046 0002CD66
	v_bfe_u32 v40, v102, 16, 1                                 // 00000000713C: D1C80028 02052166
	v_add3_u32 v40, v102, v40, v43                             // 000000007144: D1FF0028 04AE5166
	v_cndmask_b32_e64 v16, v40, v42, s[70:71]                  // 00000000714C: D1000010 011A5528
	v_lshrrev_b32_e32 v16, 16, v16                             // 000000007154: 20202090
	v_cmp_u_f32_e64 s[70:71], v103, v103                       // 000000007158: D0480046 0002CF67
	v_bfe_u32 v40, v103, 16, 1                                 // 000000007160: D1C80028 02052167
	v_add3_u32 v40, v103, v40, v43                             // 000000007168: D1FF0028 04AE5167
	v_cndmask_b32_e64 v17, v40, v42, s[70:71]                  // 000000007170: D1000011 011A5528
	v_and_or_b32 v99, v17, v41, v16                            // 000000007178: D2010063 04425311
	v_cmp_u_f32_e64 s[70:71], v104, v104                       // 000000007180: D0480046 0002D168
	v_bfe_u32 v40, v104, 16, 1                                 // 000000007188: D1C80028 02052168
	v_add3_u32 v40, v104, v40, v43                             // 000000007190: D1FF0028 04AE5168
	v_cndmask_b32_e64 v16, v40, v42, s[70:71]                  // 000000007198: D1000010 011A5528
	v_lshrrev_b32_e32 v16, 16, v16                             // 0000000071A0: 20202090
	v_cmp_u_f32_e64 s[70:71], v105, v105                       // 0000000071A4: D0480046 0002D369
	v_bfe_u32 v40, v105, 16, 1                                 // 0000000071AC: D1C80028 02052169
	v_add3_u32 v40, v105, v40, v43                             // 0000000071B4: D1FF0028 04AE5169
	v_cndmask_b32_e64 v17, v40, v42, s[70:71]                  // 0000000071BC: D1000011 011A5528
	v_and_or_b32 v100, v17, v41, v16                           // 0000000071C4: D2010064 04425311
	v_cmp_u_f32_e64 s[70:71], v106, v106                       // 0000000071CC: D0480046 0002D56A
	v_bfe_u32 v40, v106, 16, 1                                 // 0000000071D4: D1C80028 0205216A
	v_add3_u32 v40, v106, v40, v43                             // 0000000071DC: D1FF0028 04AE516A
	v_cndmask_b32_e64 v16, v40, v42, s[70:71]                  // 0000000071E4: D1000010 011A5528
	v_lshrrev_b32_e32 v16, 16, v16                             // 0000000071EC: 20202090
	v_cmp_u_f32_e64 s[70:71], v107, v107                       // 0000000071F0: D0480046 0002D76B
	v_bfe_u32 v40, v107, 16, 1                                 // 0000000071F8: D1C80028 0205216B
	v_add3_u32 v40, v107, v40, v43                             // 000000007200: D1FF0028 04AE516B
	v_cndmask_b32_e64 v17, v40, v42, s[70:71]                  // 000000007208: D1000011 011A5528
	v_and_or_b32 v101, v17, v41, v16                           // 000000007210: D2010065 04425311
	v_cmp_u_f32_e64 s[70:71], v108, v108                       // 000000007218: D0480046 0002D96C
	v_bfe_u32 v40, v108, 16, 1                                 // 000000007220: D1C80028 0205216C
	v_add3_u32 v40, v108, v40, v43                             // 000000007228: D1FF0028 04AE516C
	v_cndmask_b32_e64 v16, v40, v42, s[70:71]                  // 000000007230: D1000010 011A5528
	v_lshrrev_b32_e32 v16, 16, v16                             // 000000007238: 20202090
	v_cmp_u_f32_e64 s[70:71], v109, v109                       // 00000000723C: D0480046 0002DB6D
	v_bfe_u32 v40, v109, 16, 1                                 // 000000007244: D1C80028 0205216D
	v_add3_u32 v40, v109, v40, v43                             // 00000000724C: D1FF0028 04AE516D
	v_cndmask_b32_e64 v17, v40, v42, s[70:71]                  // 000000007254: D1000011 011A5528
	v_and_or_b32 v102, v17, v41, v16                           // 00000000725C: D2010066 04425311
	v_cmp_u_f32_e64 s[70:71], v110, v110                       // 000000007264: D0480046 0002DD6E
	v_bfe_u32 v40, v110, 16, 1                                 // 00000000726C: D1C80028 0205216E
	v_add3_u32 v40, v110, v40, v43                             // 000000007274: D1FF0028 04AE516E
	v_cndmask_b32_e64 v16, v40, v42, s[70:71]                  // 00000000727C: D1000010 011A5528
	v_lshrrev_b32_e32 v16, 16, v16                             // 000000007284: 20202090
	v_cmp_u_f32_e64 s[70:71], v111, v111                       // 000000007288: D0480046 0002DF6F
	v_bfe_u32 v40, v111, 16, 1                                 // 000000007290: D1C80028 0205216F
	v_add3_u32 v40, v111, v40, v43                             // 000000007298: D1FF0028 04AE516F
	v_cndmask_b32_e64 v17, v40, v42, s[70:71]                  // 0000000072A0: D1000011 011A5528
	v_and_or_b32 v103, v17, v41, v16                           // 0000000072A8: D2010067 04425311
	v_cmp_u_f32_e64 s[70:71], v112, v112                       // 0000000072B0: D0480046 0002E170
	v_bfe_u32 v40, v112, 16, 1                                 // 0000000072B8: D1C80028 02052170
	v_add3_u32 v40, v112, v40, v43                             // 0000000072C0: D1FF0028 04AE5170
	v_cndmask_b32_e64 v16, v40, v42, s[70:71]                  // 0000000072C8: D1000010 011A5528
	v_lshrrev_b32_e32 v16, 16, v16                             // 0000000072D0: 20202090
	v_cmp_u_f32_e64 s[70:71], v113, v113                       // 0000000072D4: D0480046 0002E371
	v_bfe_u32 v40, v113, 16, 1                                 // 0000000072DC: D1C80028 02052171
	v_add3_u32 v40, v113, v40, v43                             // 0000000072E4: D1FF0028 04AE5171
	v_cndmask_b32_e64 v17, v40, v42, s[70:71]                  // 0000000072EC: D1000011 011A5528
	v_and_or_b32 v104, v17, v41, v16                           // 0000000072F4: D2010068 04425311
	v_cmp_u_f32_e64 s[70:71], v114, v114                       // 0000000072FC: D0480046 0002E572
	v_bfe_u32 v40, v114, 16, 1                                 // 000000007304: D1C80028 02052172
	v_add3_u32 v40, v114, v40, v43                             // 00000000730C: D1FF0028 04AE5172
	v_cndmask_b32_e64 v16, v40, v42, s[70:71]                  // 000000007314: D1000010 011A5528
	v_lshrrev_b32_e32 v16, 16, v16                             // 00000000731C: 20202090
	v_cmp_u_f32_e64 s[70:71], v115, v115                       // 000000007320: D0480046 0002E773
	v_bfe_u32 v40, v115, 16, 1                                 // 000000007328: D1C80028 02052173
	v_add3_u32 v40, v115, v40, v43                             // 000000007330: D1FF0028 04AE5173
	v_cndmask_b32_e64 v17, v40, v42, s[70:71]                  // 000000007338: D1000011 011A5528
	v_and_or_b32 v105, v17, v41, v16                           // 000000007340: D2010069 04425311
	v_cmp_u_f32_e64 s[70:71], v116, v116                       // 000000007348: D0480046 0002E974
	v_bfe_u32 v40, v116, 16, 1                                 // 000000007350: D1C80028 02052174
	v_add3_u32 v40, v116, v40, v43                             // 000000007358: D1FF0028 04AE5174
	v_cndmask_b32_e64 v16, v40, v42, s[70:71]                  // 000000007360: D1000010 011A5528
	v_lshrrev_b32_e32 v16, 16, v16                             // 000000007368: 20202090
	v_cmp_u_f32_e64 s[70:71], v117, v117                       // 00000000736C: D0480046 0002EB75
	v_bfe_u32 v40, v117, 16, 1                                 // 000000007374: D1C80028 02052175
	v_add3_u32 v40, v117, v40, v43                             // 00000000737C: D1FF0028 04AE5175
	v_cndmask_b32_e64 v17, v40, v42, s[70:71]                  // 000000007384: D1000011 011A5528
	v_and_or_b32 v106, v17, v41, v16                           // 00000000738C: D201006A 04425311
	v_cmp_u_f32_e64 s[70:71], v118, v118                       // 000000007394: D0480046 0002ED76
	v_bfe_u32 v40, v118, 16, 1                                 // 00000000739C: D1C80028 02052176
	v_add3_u32 v40, v118, v40, v43                             // 0000000073A4: D1FF0028 04AE5176
	v_cndmask_b32_e64 v16, v40, v42, s[70:71]                  // 0000000073AC: D1000010 011A5528
	v_lshrrev_b32_e32 v16, 16, v16                             // 0000000073B4: 20202090
	v_cmp_u_f32_e64 s[70:71], v119, v119                       // 0000000073B8: D0480046 0002EF77
	v_bfe_u32 v40, v119, 16, 1                                 // 0000000073C0: D1C80028 02052177
	v_add3_u32 v40, v119, v40, v43                             // 0000000073C8: D1FF0028 04AE5177
	v_cndmask_b32_e64 v17, v40, v42, s[70:71]                  // 0000000073D0: D1000011 011A5528
	v_and_or_b32 v107, v17, v41, v16                           // 0000000073D8: D201006B 04425311
	v_cmp_u_f32_e64 s[70:71], v120, v120                       // 0000000073E0: D0480046 0002F178
	v_bfe_u32 v40, v120, 16, 1                                 // 0000000073E8: D1C80028 02052178
	v_add3_u32 v40, v120, v40, v43                             // 0000000073F0: D1FF0028 04AE5178
	v_cndmask_b32_e64 v16, v40, v42, s[70:71]                  // 0000000073F8: D1000010 011A5528
	v_lshrrev_b32_e32 v16, 16, v16                             // 000000007400: 20202090
	v_cmp_u_f32_e64 s[70:71], v121, v121                       // 000000007404: D0480046 0002F379
	v_bfe_u32 v40, v121, 16, 1                                 // 00000000740C: D1C80028 02052179
	v_add3_u32 v40, v121, v40, v43                             // 000000007414: D1FF0028 04AE5179
	v_cndmask_b32_e64 v17, v40, v42, s[70:71]                  // 00000000741C: D1000011 011A5528
	v_and_or_b32 v108, v17, v41, v16                           // 000000007424: D201006C 04425311
	v_cmp_u_f32_e64 s[70:71], v122, v122                       // 00000000742C: D0480046 0002F57A
	v_bfe_u32 v40, v122, 16, 1                                 // 000000007434: D1C80028 0205217A
	v_add3_u32 v40, v122, v40, v43                             // 00000000743C: D1FF0028 04AE517A
	v_cndmask_b32_e64 v16, v40, v42, s[70:71]                  // 000000007444: D1000010 011A5528
	v_lshrrev_b32_e32 v16, 16, v16                             // 00000000744C: 20202090
	v_cmp_u_f32_e64 s[70:71], v123, v123                       // 000000007450: D0480046 0002F77B
	v_bfe_u32 v40, v123, 16, 1                                 // 000000007458: D1C80028 0205217B
	v_add3_u32 v40, v123, v40, v43                             // 000000007460: D1FF0028 04AE517B
	v_cndmask_b32_e64 v17, v40, v42, s[70:71]                  // 000000007468: D1000011 011A5528
	v_and_or_b32 v109, v17, v41, v16                           // 000000007470: D201006D 04425311
	v_cmp_u_f32_e64 s[70:71], v124, v124                       // 000000007478: D0480046 0002F97C
	v_bfe_u32 v40, v124, 16, 1                                 // 000000007480: D1C80028 0205217C
	v_add3_u32 v40, v124, v40, v43                             // 000000007488: D1FF0028 04AE517C
	v_cndmask_b32_e64 v16, v40, v42, s[70:71]                  // 000000007490: D1000010 011A5528
	v_lshrrev_b32_e32 v16, 16, v16                             // 000000007498: 20202090
	v_cmp_u_f32_e64 s[70:71], v125, v125                       // 00000000749C: D0480046 0002FB7D
	v_bfe_u32 v40, v125, 16, 1                                 // 0000000074A4: D1C80028 0205217D
	v_add3_u32 v40, v125, v40, v43                             // 0000000074AC: D1FF0028 04AE517D
	v_cndmask_b32_e64 v17, v40, v42, s[70:71]                  // 0000000074B4: D1000011 011A5528
	v_and_or_b32 v110, v17, v41, v16                           // 0000000074BC: D201006E 04425311
	v_cmp_u_f32_e64 s[70:71], v126, v126                       // 0000000074C4: D0480046 0002FD7E
	v_bfe_u32 v40, v126, 16, 1                                 // 0000000074CC: D1C80028 0205217E
	v_add3_u32 v40, v126, v40, v43                             // 0000000074D4: D1FF0028 04AE517E
	v_cndmask_b32_e64 v16, v40, v42, s[70:71]                  // 0000000074DC: D1000010 011A5528
	v_lshrrev_b32_e32 v16, 16, v16                             // 0000000074E4: 20202090
	v_cmp_u_f32_e64 s[70:71], v127, v127                       // 0000000074E8: D0480046 0002FF7F
	v_bfe_u32 v40, v127, 16, 1                                 // 0000000074F0: D1C80028 0205217F
	v_add3_u32 v40, v127, v40, v43                             // 0000000074F8: D1FF0028 04AE517F
	v_cndmask_b32_e64 v17, v40, v42, s[70:71]                  // 000000007500: D1000011 011A5528
	v_and_or_b32 v111, v17, v41, v16                           // 000000007508: D201006F 04425311
	ds_write_b64 v35, v[96:97]                                 // 000000007510: D89A0000 00006023
	ds_write_b64 v35, v[98:99] offset:528                      // 000000007518: D89A0210 00006223
	ds_write_b64 v35, v[100:101] offset:1056                   // 000000007520: D89A0420 00006423
	ds_write_b64 v35, v[102:103] offset:1584                   // 000000007528: D89A0630 00006623
	ds_write_b64 v35, v[104:105] offset:2112                   // 000000007530: D89A0840 00006823
	ds_write_b64 v35, v[106:107] offset:2640                   // 000000007538: D89A0A50 00006A23
	ds_write_b64 v35, v[108:109] offset:3168                   // 000000007540: D89A0C60 00006C23
	ds_write_b64 v35, v[110:111] offset:3696                   // 000000007548: D89A0E70 00006E23
	s_waitcnt vmcnt(0) expcnt(0) lgkmcnt(0)                    // 000000007550: BF8C0000
	ds_read_b64 v[96:97], v34                                  // 000000007554: D8EC0000 60000022
	ds_read_b64 v[98:99], v34 offset:264                       // 00000000755C: D8EC0108 62000022
	ds_read_b64 v[100:101], v34 offset:64                      // 000000007564: D8EC0040 64000022
	ds_read_b64 v[102:103], v34 offset:328                     // 00000000756C: D8EC0148 66000022
	ds_read_b64 v[104:105], v34 offset:128                     // 000000007574: D8EC0080 68000022
	ds_read_b64 v[106:107], v34 offset:392                     // 00000000757C: D8EC0188 6A000022
	ds_read_b64 v[108:109], v34 offset:192                     // 000000007584: D8EC00C0 6C000022
	ds_read_b64 v[110:111], v34 offset:456                     // 00000000758C: D8EC01C8 6E000022
	s_waitcnt vmcnt(0) expcnt(0) lgkmcnt(0)                    // 000000007594: BF8C0000
	buffer_store_dwordx4 v[96:99], v8, s[20:23], 0 offen       // 000000007598: E07C1000 80056008
	buffer_store_dwordx4 v[100:103], v9, s[20:23], 0 offen     // 0000000075A0: E07C1000 80056409
	buffer_store_dwordx4 v[104:107], v10, s[20:23], 0 offen    // 0000000075A8: E07C1000 8005680A
	buffer_store_dwordx4 v[108:111], v11, s[20:23], 0 offen    // 0000000075B0: E07C1000 80056C0B
	v_pk_mul_f32 v[128:129], v[22:23], v[128:129]              // 0000000075B8: D3B14080 18030116
	v_pk_mul_f32 v[130:131], v[22:23], v[130:131]              // 0000000075C0: D3B14082 18030516
	v_pk_mul_f32 v[132:133], v[22:23], v[132:133]              // 0000000075C8: D3B14084 18030916
	v_pk_mul_f32 v[134:135], v[22:23], v[134:135]              // 0000000075D0: D3B14086 18030D16
	v_pk_mul_f32 v[136:137], v[22:23], v[136:137]              // 0000000075D8: D3B14088 18031116
	v_pk_mul_f32 v[138:139], v[22:23], v[138:139]              // 0000000075E0: D3B1408A 18031516
	v_pk_mul_f32 v[140:141], v[22:23], v[140:141]              // 0000000075E8: D3B1408C 18031916
	v_pk_mul_f32 v[142:143], v[22:23], v[142:143]              // 0000000075F0: D3B1408E 18031D16
	v_pk_mul_f32 v[144:145], v[22:23], v[144:145]              // 0000000075F8: D3B14090 18032116
	v_pk_mul_f32 v[146:147], v[22:23], v[146:147]              // 000000007600: D3B14092 18032516
	v_pk_mul_f32 v[148:149], v[22:23], v[148:149]              // 000000007608: D3B14094 18032916
	v_pk_mul_f32 v[150:151], v[22:23], v[150:151]              // 000000007610: D3B14096 18032D16
	v_pk_mul_f32 v[152:153], v[22:23], v[152:153]              // 000000007618: D3B14098 18033116
	v_pk_mul_f32 v[154:155], v[22:23], v[154:155]              // 000000007620: D3B1409A 18033516
	v_pk_mul_f32 v[156:157], v[22:23], v[156:157]              // 000000007628: D3B1409C 18033916
	v_pk_mul_f32 v[158:159], v[22:23], v[158:159]              // 000000007630: D3B1409E 18033D16
	v_cmp_u_f32_e64 s[70:71], v128, v128                       // 000000007638: D0480046 00030180
	v_bfe_u32 v40, v128, 16, 1                                 // 000000007640: D1C80028 02052180
	v_add3_u32 v40, v128, v40, v43                             // 000000007648: D1FF0028 04AE5180
	v_cndmask_b32_e64 v16, v40, v42, s[70:71]                  // 000000007650: D1000010 011A5528
	v_lshrrev_b32_e32 v16, 16, v16                             // 000000007658: 20202090
	v_cmp_u_f32_e64 s[70:71], v129, v129                       // 00000000765C: D0480046 00030381
	v_bfe_u32 v40, v129, 16, 1                                 // 000000007664: D1C80028 02052181
	v_add3_u32 v40, v129, v40, v43                             // 00000000766C: D1FF0028 04AE5181
	v_cndmask_b32_e64 v17, v40, v42, s[70:71]                  // 000000007674: D1000011 011A5528
	v_and_or_b32 v128, v17, v41, v16                           // 00000000767C: D2010080 04425311
	v_cmp_u_f32_e64 s[70:71], v130, v130                       // 000000007684: D0480046 00030582
	v_bfe_u32 v40, v130, 16, 1                                 // 00000000768C: D1C80028 02052182
	v_add3_u32 v40, v130, v40, v43                             // 000000007694: D1FF0028 04AE5182
	v_cndmask_b32_e64 v16, v40, v42, s[70:71]                  // 00000000769C: D1000010 011A5528
	v_lshrrev_b32_e32 v16, 16, v16                             // 0000000076A4: 20202090
	v_cmp_u_f32_e64 s[70:71], v131, v131                       // 0000000076A8: D0480046 00030783
	v_bfe_u32 v40, v131, 16, 1                                 // 0000000076B0: D1C80028 02052183
	v_add3_u32 v40, v131, v40, v43                             // 0000000076B8: D1FF0028 04AE5183
	v_cndmask_b32_e64 v17, v40, v42, s[70:71]                  // 0000000076C0: D1000011 011A5528
	v_and_or_b32 v129, v17, v41, v16                           // 0000000076C8: D2010081 04425311
	v_cmp_u_f32_e64 s[70:71], v132, v132                       // 0000000076D0: D0480046 00030984
	v_bfe_u32 v40, v132, 16, 1                                 // 0000000076D8: D1C80028 02052184
	v_add3_u32 v40, v132, v40, v43                             // 0000000076E0: D1FF0028 04AE5184
	v_cndmask_b32_e64 v16, v40, v42, s[70:71]                  // 0000000076E8: D1000010 011A5528
	v_lshrrev_b32_e32 v16, 16, v16                             // 0000000076F0: 20202090
	v_cmp_u_f32_e64 s[70:71], v133, v133                       // 0000000076F4: D0480046 00030B85
	v_bfe_u32 v40, v133, 16, 1                                 // 0000000076FC: D1C80028 02052185
	v_add3_u32 v40, v133, v40, v43                             // 000000007704: D1FF0028 04AE5185
	v_cndmask_b32_e64 v17, v40, v42, s[70:71]                  // 00000000770C: D1000011 011A5528
	v_and_or_b32 v130, v17, v41, v16                           // 000000007714: D2010082 04425311
	v_cmp_u_f32_e64 s[70:71], v134, v134                       // 00000000771C: D0480046 00030D86
	v_bfe_u32 v40, v134, 16, 1                                 // 000000007724: D1C80028 02052186
	v_add3_u32 v40, v134, v40, v43                             // 00000000772C: D1FF0028 04AE5186
	v_cndmask_b32_e64 v16, v40, v42, s[70:71]                  // 000000007734: D1000010 011A5528
	v_lshrrev_b32_e32 v16, 16, v16                             // 00000000773C: 20202090
	v_cmp_u_f32_e64 s[70:71], v135, v135                       // 000000007740: D0480046 00030F87
	v_bfe_u32 v40, v135, 16, 1                                 // 000000007748: D1C80028 02052187
	v_add3_u32 v40, v135, v40, v43                             // 000000007750: D1FF0028 04AE5187
	v_cndmask_b32_e64 v17, v40, v42, s[70:71]                  // 000000007758: D1000011 011A5528
	v_and_or_b32 v131, v17, v41, v16                           // 000000007760: D2010083 04425311
	v_cmp_u_f32_e64 s[70:71], v136, v136                       // 000000007768: D0480046 00031188
	v_bfe_u32 v40, v136, 16, 1                                 // 000000007770: D1C80028 02052188
	v_add3_u32 v40, v136, v40, v43                             // 000000007778: D1FF0028 04AE5188
	v_cndmask_b32_e64 v16, v40, v42, s[70:71]                  // 000000007780: D1000010 011A5528
	v_lshrrev_b32_e32 v16, 16, v16                             // 000000007788: 20202090
	v_cmp_u_f32_e64 s[70:71], v137, v137                       // 00000000778C: D0480046 00031389
	v_bfe_u32 v40, v137, 16, 1                                 // 000000007794: D1C80028 02052189
	v_add3_u32 v40, v137, v40, v43                             // 00000000779C: D1FF0028 04AE5189
	v_cndmask_b32_e64 v17, v40, v42, s[70:71]                  // 0000000077A4: D1000011 011A5528
	v_and_or_b32 v132, v17, v41, v16                           // 0000000077AC: D2010084 04425311
	v_cmp_u_f32_e64 s[70:71], v138, v138                       // 0000000077B4: D0480046 0003158A
	v_bfe_u32 v40, v138, 16, 1                                 // 0000000077BC: D1C80028 0205218A
	v_add3_u32 v40, v138, v40, v43                             // 0000000077C4: D1FF0028 04AE518A
	v_cndmask_b32_e64 v16, v40, v42, s[70:71]                  // 0000000077CC: D1000010 011A5528
	v_lshrrev_b32_e32 v16, 16, v16                             // 0000000077D4: 20202090
	v_cmp_u_f32_e64 s[70:71], v139, v139                       // 0000000077D8: D0480046 0003178B
	v_bfe_u32 v40, v139, 16, 1                                 // 0000000077E0: D1C80028 0205218B
	v_add3_u32 v40, v139, v40, v43                             // 0000000077E8: D1FF0028 04AE518B
	v_cndmask_b32_e64 v17, v40, v42, s[70:71]                  // 0000000077F0: D1000011 011A5528
	v_and_or_b32 v133, v17, v41, v16                           // 0000000077F8: D2010085 04425311
	v_cmp_u_f32_e64 s[70:71], v140, v140                       // 000000007800: D0480046 0003198C
	v_bfe_u32 v40, v140, 16, 1                                 // 000000007808: D1C80028 0205218C
	v_add3_u32 v40, v140, v40, v43                             // 000000007810: D1FF0028 04AE518C
	v_cndmask_b32_e64 v16, v40, v42, s[70:71]                  // 000000007818: D1000010 011A5528
	v_lshrrev_b32_e32 v16, 16, v16                             // 000000007820: 20202090
	v_cmp_u_f32_e64 s[70:71], v141, v141                       // 000000007824: D0480046 00031B8D
	v_bfe_u32 v40, v141, 16, 1                                 // 00000000782C: D1C80028 0205218D
	v_add3_u32 v40, v141, v40, v43                             // 000000007834: D1FF0028 04AE518D
	v_cndmask_b32_e64 v17, v40, v42, s[70:71]                  // 00000000783C: D1000011 011A5528
	v_and_or_b32 v134, v17, v41, v16                           // 000000007844: D2010086 04425311
	v_cmp_u_f32_e64 s[70:71], v142, v142                       // 00000000784C: D0480046 00031D8E
	v_bfe_u32 v40, v142, 16, 1                                 // 000000007854: D1C80028 0205218E
	v_add3_u32 v40, v142, v40, v43                             // 00000000785C: D1FF0028 04AE518E
	v_cndmask_b32_e64 v16, v40, v42, s[70:71]                  // 000000007864: D1000010 011A5528
	v_lshrrev_b32_e32 v16, 16, v16                             // 00000000786C: 20202090
	v_cmp_u_f32_e64 s[70:71], v143, v143                       // 000000007870: D0480046 00031F8F
	v_bfe_u32 v40, v143, 16, 1                                 // 000000007878: D1C80028 0205218F
	v_add3_u32 v40, v143, v40, v43                             // 000000007880: D1FF0028 04AE518F
	v_cndmask_b32_e64 v17, v40, v42, s[70:71]                  // 000000007888: D1000011 011A5528
	v_and_or_b32 v135, v17, v41, v16                           // 000000007890: D2010087 04425311
	v_cmp_u_f32_e64 s[70:71], v144, v144                       // 000000007898: D0480046 00032190
	v_bfe_u32 v40, v144, 16, 1                                 // 0000000078A0: D1C80028 02052190
	v_add3_u32 v40, v144, v40, v43                             // 0000000078A8: D1FF0028 04AE5190
	v_cndmask_b32_e64 v16, v40, v42, s[70:71]                  // 0000000078B0: D1000010 011A5528
	v_lshrrev_b32_e32 v16, 16, v16                             // 0000000078B8: 20202090
	v_cmp_u_f32_e64 s[70:71], v145, v145                       // 0000000078BC: D0480046 00032391
	v_bfe_u32 v40, v145, 16, 1                                 // 0000000078C4: D1C80028 02052191
	v_add3_u32 v40, v145, v40, v43                             // 0000000078CC: D1FF0028 04AE5191
	v_cndmask_b32_e64 v17, v40, v42, s[70:71]                  // 0000000078D4: D1000011 011A5528
	v_and_or_b32 v136, v17, v41, v16                           // 0000000078DC: D2010088 04425311
	v_cmp_u_f32_e64 s[70:71], v146, v146                       // 0000000078E4: D0480046 00032592
	v_bfe_u32 v40, v146, 16, 1                                 // 0000000078EC: D1C80028 02052192
	v_add3_u32 v40, v146, v40, v43                             // 0000000078F4: D1FF0028 04AE5192
	v_cndmask_b32_e64 v16, v40, v42, s[70:71]                  // 0000000078FC: D1000010 011A5528
	v_lshrrev_b32_e32 v16, 16, v16                             // 000000007904: 20202090
	v_cmp_u_f32_e64 s[70:71], v147, v147                       // 000000007908: D0480046 00032793
	v_bfe_u32 v40, v147, 16, 1                                 // 000000007910: D1C80028 02052193
	v_add3_u32 v40, v147, v40, v43                             // 000000007918: D1FF0028 04AE5193
	v_cndmask_b32_e64 v17, v40, v42, s[70:71]                  // 000000007920: D1000011 011A5528
	v_and_or_b32 v137, v17, v41, v16                           // 000000007928: D2010089 04425311
	v_cmp_u_f32_e64 s[70:71], v148, v148                       // 000000007930: D0480046 00032994
	v_bfe_u32 v40, v148, 16, 1                                 // 000000007938: D1C80028 02052194
	v_add3_u32 v40, v148, v40, v43                             // 000000007940: D1FF0028 04AE5194
	v_cndmask_b32_e64 v16, v40, v42, s[70:71]                  // 000000007948: D1000010 011A5528
	v_lshrrev_b32_e32 v16, 16, v16                             // 000000007950: 20202090
	v_cmp_u_f32_e64 s[70:71], v149, v149                       // 000000007954: D0480046 00032B95
	v_bfe_u32 v40, v149, 16, 1                                 // 00000000795C: D1C80028 02052195
	v_add3_u32 v40, v149, v40, v43                             // 000000007964: D1FF0028 04AE5195
	v_cndmask_b32_e64 v17, v40, v42, s[70:71]                  // 00000000796C: D1000011 011A5528
	v_and_or_b32 v138, v17, v41, v16                           // 000000007974: D201008A 04425311
	v_cmp_u_f32_e64 s[70:71], v150, v150                       // 00000000797C: D0480046 00032D96
	v_bfe_u32 v40, v150, 16, 1                                 // 000000007984: D1C80028 02052196
	v_add3_u32 v40, v150, v40, v43                             // 00000000798C: D1FF0028 04AE5196
	v_cndmask_b32_e64 v16, v40, v42, s[70:71]                  // 000000007994: D1000010 011A5528
	v_lshrrev_b32_e32 v16, 16, v16                             // 00000000799C: 20202090
	v_cmp_u_f32_e64 s[70:71], v151, v151                       // 0000000079A0: D0480046 00032F97
	v_bfe_u32 v40, v151, 16, 1                                 // 0000000079A8: D1C80028 02052197
	v_add3_u32 v40, v151, v40, v43                             // 0000000079B0: D1FF0028 04AE5197
	v_cndmask_b32_e64 v17, v40, v42, s[70:71]                  // 0000000079B8: D1000011 011A5528
	v_and_or_b32 v139, v17, v41, v16                           // 0000000079C0: D201008B 04425311
	v_cmp_u_f32_e64 s[70:71], v152, v152                       // 0000000079C8: D0480046 00033198
	v_bfe_u32 v40, v152, 16, 1                                 // 0000000079D0: D1C80028 02052198
	v_add3_u32 v40, v152, v40, v43                             // 0000000079D8: D1FF0028 04AE5198
	v_cndmask_b32_e64 v16, v40, v42, s[70:71]                  // 0000000079E0: D1000010 011A5528
	v_lshrrev_b32_e32 v16, 16, v16                             // 0000000079E8: 20202090
	v_cmp_u_f32_e64 s[70:71], v153, v153                       // 0000000079EC: D0480046 00033399
	v_bfe_u32 v40, v153, 16, 1                                 // 0000000079F4: D1C80028 02052199
	v_add3_u32 v40, v153, v40, v43                             // 0000000079FC: D1FF0028 04AE5199
	v_cndmask_b32_e64 v17, v40, v42, s[70:71]                  // 000000007A04: D1000011 011A5528
	v_and_or_b32 v140, v17, v41, v16                           // 000000007A0C: D201008C 04425311
	v_cmp_u_f32_e64 s[70:71], v154, v154                       // 000000007A14: D0480046 0003359A
	v_bfe_u32 v40, v154, 16, 1                                 // 000000007A1C: D1C80028 0205219A
	v_add3_u32 v40, v154, v40, v43                             // 000000007A24: D1FF0028 04AE519A
	v_cndmask_b32_e64 v16, v40, v42, s[70:71]                  // 000000007A2C: D1000010 011A5528
	v_lshrrev_b32_e32 v16, 16, v16                             // 000000007A34: 20202090
	v_cmp_u_f32_e64 s[70:71], v155, v155                       // 000000007A38: D0480046 0003379B
	v_bfe_u32 v40, v155, 16, 1                                 // 000000007A40: D1C80028 0205219B
	v_add3_u32 v40, v155, v40, v43                             // 000000007A48: D1FF0028 04AE519B
	v_cndmask_b32_e64 v17, v40, v42, s[70:71]                  // 000000007A50: D1000011 011A5528
	v_and_or_b32 v141, v17, v41, v16                           // 000000007A58: D201008D 04425311
	v_cmp_u_f32_e64 s[70:71], v156, v156                       // 000000007A60: D0480046 0003399C
	v_bfe_u32 v40, v156, 16, 1                                 // 000000007A68: D1C80028 0205219C
	v_add3_u32 v40, v156, v40, v43                             // 000000007A70: D1FF0028 04AE519C
	v_cndmask_b32_e64 v16, v40, v42, s[70:71]                  // 000000007A78: D1000010 011A5528
	v_lshrrev_b32_e32 v16, 16, v16                             // 000000007A80: 20202090
	v_cmp_u_f32_e64 s[70:71], v157, v157                       // 000000007A84: D0480046 00033B9D
	v_bfe_u32 v40, v157, 16, 1                                 // 000000007A8C: D1C80028 0205219D
	v_add3_u32 v40, v157, v40, v43                             // 000000007A94: D1FF0028 04AE519D
	v_cndmask_b32_e64 v17, v40, v42, s[70:71]                  // 000000007A9C: D1000011 011A5528
	v_and_or_b32 v142, v17, v41, v16                           // 000000007AA4: D201008E 04425311
	v_cmp_u_f32_e64 s[70:71], v158, v158                       // 000000007AAC: D0480046 00033D9E
	v_bfe_u32 v40, v158, 16, 1                                 // 000000007AB4: D1C80028 0205219E
	v_add3_u32 v40, v158, v40, v43                             // 000000007ABC: D1FF0028 04AE519E
	v_cndmask_b32_e64 v16, v40, v42, s[70:71]                  // 000000007AC4: D1000010 011A5528
	v_lshrrev_b32_e32 v16, 16, v16                             // 000000007ACC: 20202090
	v_cmp_u_f32_e64 s[70:71], v159, v159                       // 000000007AD0: D0480046 00033F9F
	v_bfe_u32 v40, v159, 16, 1                                 // 000000007AD8: D1C80028 0205219F
	v_add3_u32 v40, v159, v40, v43                             // 000000007AE0: D1FF0028 04AE519F
	v_cndmask_b32_e64 v17, v40, v42, s[70:71]                  // 000000007AE8: D1000011 011A5528
	v_and_or_b32 v143, v17, v41, v16                           // 000000007AF0: D201008F 04425311
	ds_write_b64 v35, v[128:129]                               // 000000007AF8: D89A0000 00008023
	ds_write_b64 v35, v[130:131] offset:528                    // 000000007B00: D89A0210 00008223
	ds_write_b64 v35, v[132:133] offset:1056                   // 000000007B08: D89A0420 00008423
	ds_write_b64 v35, v[134:135] offset:1584                   // 000000007B10: D89A0630 00008623
	ds_write_b64 v35, v[136:137] offset:2112                   // 000000007B18: D89A0840 00008823
	ds_write_b64 v35, v[138:139] offset:2640                   // 000000007B20: D89A0A50 00008A23
	ds_write_b64 v35, v[140:141] offset:3168                   // 000000007B28: D89A0C60 00008C23
	ds_write_b64 v35, v[142:143] offset:3696                   // 000000007B30: D89A0E70 00008E23
	s_waitcnt vmcnt(0) expcnt(0) lgkmcnt(0)                    // 000000007B38: BF8C0000
	ds_read_b64 v[128:129], v34                                // 000000007B3C: D8EC0000 80000022
	ds_read_b64 v[130:131], v34 offset:264                     // 000000007B44: D8EC0108 82000022
	ds_read_b64 v[132:133], v34 offset:64                      // 000000007B4C: D8EC0040 84000022
	ds_read_b64 v[134:135], v34 offset:328                     // 000000007B54: D8EC0148 86000022
	ds_read_b64 v[136:137], v34 offset:128                     // 000000007B5C: D8EC0080 88000022
	ds_read_b64 v[138:139], v34 offset:392                     // 000000007B64: D8EC0188 8A000022
	ds_read_b64 v[140:141], v34 offset:192                     // 000000007B6C: D8EC00C0 8C000022
	ds_read_b64 v[142:143], v34 offset:456                     // 000000007B74: D8EC01C8 8E000022
	s_waitcnt vmcnt(0) expcnt(0) lgkmcnt(0)                    // 000000007B7C: BF8C0000
	buffer_store_dwordx4 v[128:131], v8, s[20:23], 0 offen offset:128// 000000007B80: E07C1080 80058008
	buffer_store_dwordx4 v[132:135], v9, s[20:23], 0 offen offset:128// 000000007B88: E07C1080 80058409
	buffer_store_dwordx4 v[136:139], v10, s[20:23], 0 offen offset:128// 000000007B90: E07C1080 8005880A
	buffer_store_dwordx4 v[140:143], v11, s[20:23], 0 offen offset:128// 000000007B98: E07C1080 80058C0B
	s_cmp_eq_u32 s37, 0                                        // 000000007BA0: BF068025
	s_cbranch_scc1 label_1230                                  // 000000007BA4: BF850006
	v_cmp_ge_f32_e64 s[40:41], v2, v31                         // 000000007BA8: D0460028 00023F02
	v_cndmask_b32_e64 v2, v31, v2, s[40:41]                    // 000000007BB0: D1000002 00A2051F
	buffer_store_dword v2, v3, s[24:27], 0 offen               // 000000007BB8: E0701000 80060203

0000000000007bc0 <label_1230>:
	s_waitcnt vmcnt(0) expcnt(0) lgkmcnt(0)                    // 000000007BC0: BF8C0000
	s_endpgm                                                   // 000000007BC4: BF810000
